;; amdgpu-corpus repo=ROCm/aiter kind=harvested arch=n/a opt=n/a

/root/src/amdgpu-assembly/repos/ROCm__aiter/hsa/gfx942/fmoe_2stages/fmoe_stage1_bf16_pertokenFp8_g1u1_96x64_pf3.co:	file format elf64-amdgpu

Disassembly of section .text:

0000000000002900 <_ZN5aiter43fmoe_stage1_bf16_pertokenFp8_g1u1_96x64_pf3E>:
	s_and_b32 s1, s1, 0xffff                                   // 000000002900: 8601FF01 0000FFFF
	s_load_dwordx2 s[8:9], s[0:1], 0x0                         // 000000002908: C0060200 00000000
	s_load_dwordx2 s[20:21], s[0:1], 0x10                      // 000000002910: C0060500 00000010
	s_load_dwordx2 s[24:25], s[0:1], 0x20                      // 000000002918: C0060600 00000020
	s_load_dwordx2 s[48:49], s[0:1], 0x30                      // 000000002920: C0060C00 00000030
	s_load_dwordx2 s[28:29], s[0:1], 0x40                      // 000000002928: C0060700 00000040
	s_load_dwordx2 s[32:33], s[0:1], 0x50                      // 000000002930: C0060800 00000050
	s_load_dwordx2 s[36:37], s[0:1], 0x60                      // 000000002938: C0060900 00000060
	s_load_dwordx2 s[12:13], s[0:1], 0x70                      // 000000002940: C0060300 00000070
	s_load_dwordx2 s[44:45], s[0:1], 0x80                      // 000000002948: C0060B00 00000080
	s_mov_b32 s89, 0                                           // 000000002950: BED90080
	s_load_dword s64, s[0:1], 0x90                             // 000000002954: C0021000 00000090
	s_load_dword s65, s[0:1], 0xa0                             // 00000000295C: C0021040 000000A0
	s_load_dword s66, s[0:1], 0xb0                             // 000000002964: C0021080 000000B0
	s_load_dword s67, s[0:1], 0xc0                             // 00000000296C: C00210C0 000000C0
	s_load_dword s68, s[0:1], 0xd0                             // 000000002974: C0021100 000000D0
	s_load_dword s69, s[0:1], 0xe0                             // 00000000297C: C0021140 000000E0
	s_load_dword s71, s[0:1], 0xf0                             // 000000002984: C00211C0 000000F0
	s_load_dword s72, s[0:1], 0x100                            // 00000000298C: C0021200 00000100
	s_load_dword s74, s[0:1], 0x110                            // 000000002994: C0021280 00000110
	s_load_dword s76, s[0:1], 0x120                            // 00000000299C: C0021300 00000120
	s_load_dword s56, s[0:1], 0x130                            // 0000000029A4: C0020E00 00000130
	s_load_dword s88, s[0:1], 0x140                            // 0000000029AC: C0021600 00000140
	s_load_dword s89, s[0:1], 0x150                            // 0000000029B4: C0021640 00000150
	v_lshrrev_b32_e32 v1, 10, v0                               // 0000000029BC: 2002008A
	v_lshrrev_b32_e32 v2, 10, v1                               // 0000000029C0: 2004028A
	v_and_b32_e32 v2, 0x3ff, v2                                // 0000000029C4: 260404FF 000003FF
	v_and_b32_e32 v1, 0x3ff, v1                                // 0000000029CC: 260202FF 000003FF
	v_and_b32_e32 v0, 0x3ff, v0                                // 0000000029D4: 260000FF 000003FF
	v_lshrrev_b32_e32 v3, 6, v0                                // 0000000029DC: 20060086
	v_and_b32_e32 v0, 63, v0                                   // 0000000029E0: 260000BF
	s_mov_b32 s2, s2                                           // 0000000029E4: BE820002
	s_mov_b32 s3, s3                                           // 0000000029E8: BE830003
	s_mov_b32 s4, s4                                           // 0000000029EC: BE840004
	v_readfirstlane_b32 s7, v3                                 // 0000000029F0: 7E0E0503
	s_waitcnt lgkmcnt(0)                                       // 0000000029F4: BF8CC07F
	s_and_b32 s49, s49, 0xffff                                 // 0000000029F8: 8631FF31 0000FFFF
	s_load_dword s48, s[48:49], 0x0                            // 000000002A00: C0020C18 00000000
	s_and_b32 s45, s45, 0xffff                                 // 000000002A08: 862DFF2D 0000FFFF
	s_and_b32 s9, s9, 0xffff                                   // 000000002A10: 8609FF09 0000FFFF
	s_mul_i32 s60, s66, s68                                    // 000000002A18: 923C4442
	s_mul_i32 s61, s66, 4                                      // 000000002A1C: 923D8442
	s_mov_b32 s22, s60                                         // 000000002A20: BE96003C
	s_mov_b32 s26, -16                                         // 000000002A24: BE9A00D0
	s_mov_b32 s30, s61                                         // 000000002A28: BE9E003D
	s_mov_b32 s14, 0x180                                       // 000000002A2C: BE8E00FF 00000180
	s_mov_b32 s38, -16                                         // 000000002A34: BEA600D0
	s_mov_b32 s10, -16                                         // 000000002A38: BE8A00D0
	s_mov_b32 s34, 0x100                                       // 000000002A3C: BEA200FF 00000100
	s_mov_b32 s23, 0x20000                                     // 000000002A44: BE9700FF 00020000
	s_mov_b32 s27, 0x20000                                     // 000000002A4C: BE9B00FF 00020000
	s_mov_b32 s31, 0x20000                                     // 000000002A54: BE9F00FF 00020000
	s_mov_b32 s35, 0x20000                                     // 000000002A5C: BEA300FF 00020000
	s_mov_b32 s15, 0x20000                                     // 000000002A64: BE8F00FF 00020000
	s_mov_b32 s39, 0x20000                                     // 000000002A6C: BEA700FF 00020000
	s_mov_b32 s11, 0x20000                                     // 000000002A74: BE8B00FF 00020000
	s_and_b32 s21, s21, 0xffff                                 // 000000002A7C: 8615FF15 0000FFFF
	s_and_b32 s25, s25, 0xffff                                 // 000000002A84: 8619FF19 0000FFFF
	s_and_b32 s29, s29, 0xffff                                 // 000000002A8C: 861DFF1D 0000FFFF
	s_and_b32 s33, s33, 0xffff                                 // 000000002A94: 8621FF21 0000FFFF
	s_and_b32 s13, s13, 0xffff                                 // 000000002A9C: 860DFF0D 0000FFFF
	s_and_b32 s37, s37, 0xffff                                 // 000000002AA4: 8625FF25 0000FFFF
	s_or_b32 s21, s21, 0x40000                                 // 000000002AAC: 8715FF15 00040000
	s_or_b32 s25, s25, 0x40000                                 // 000000002AB4: 8719FF19 00040000
	s_or_b32 s29, s29, 0x40000                                 // 000000002ABC: 871DFF1D 00040000
	s_or_b32 s33, s33, 0x40000                                 // 000000002AC4: 8721FF21 00040000
	s_or_b32 s13, s13, 0x40000                                 // 000000002ACC: 870DFF0D 00040000
	s_or_b32 s37, s37, 0x40000                                 // 000000002AD4: 8725FF25 00040000
	v_accvgpr_write_b32 a119, 0                                // 000000002ADC: D3D94077 18000080
	v_mov_b32_e32 v115, 0                                      // 000000002AE4: 7EE60280
	s_waitcnt lgkmcnt(0)                                       // 000000002AE8: BF8CC07F
	s_mul_i32 s60, s3, 0x60                                    // 000000002AEC: 923CFF03 00000060
	s_cmp_lt_i32 s60, s48                                      // 000000002AF4: BF04303C
	s_cbranch_scc0 label_209B                                  // 000000002AF8: BF842019
	s_mov_b32 s80, 0                                           // 000000002AFC: BED00080
	s_lshr_b32 s81, s64, s88                                   // 000000002B00: 8F515840
	s_mul_i32 s60, s3, 4                                       // 000000002B04: 923C8403
	s_add_u32 s44, s60, s44                                    // 000000002B08: 802C2C3C
	s_addc_u32 s45, 0, s45                                     // 000000002B0C: 822D2D80
	s_load_dword s5, s[44:45], 0x0                             // 000000002B10: C0020156 00000000
	s_mul_i32 s60, s3, 0x60                                    // 000000002B18: 923CFF03 00000060
	s_mul_i32 s60, 4, s60                                      // 000000002B20: 923C3C84
	s_add_u32 s12, s60, s12                                    // 000000002B24: 800C0C3C
	s_addc_u32 s13, 0, s13                                     // 000000002B28: 820D0D80
	v_and_b32_e32 v4, 15, v0                                   // 000000002B2C: 2608008F
	v_lshlrev_b32_e32 v4, 2, v4                                // 000000002B30: 24080882
	buffer_load_dword v30, v4, s[12:15], 0 offen               // 000000002B34: E0501000 80031E04
	v_add_u32_e32 v4, 64, v4                                   // 000000002B3C: 680808C0
	buffer_load_dword v31, v4, s[12:15], 0 offen               // 000000002B40: E0501000 80031F04
	v_add_u32_e32 v4, 64, v4                                   // 000000002B48: 680808C0
	buffer_load_dword v32, v4, s[12:15], 0 offen               // 000000002B4C: E0501000 80032004
	v_add_u32_e32 v4, 64, v4                                   // 000000002B54: 680808C0
	buffer_load_dword v33, v4, s[12:15], 0 offen               // 000000002B58: E0501000 80032104
	v_add_u32_e32 v4, 64, v4                                   // 000000002B60: 680808C0
	buffer_load_dword v34, v4, s[12:15], 0 offen               // 000000002B64: E0501000 80032204
	v_add_u32_e32 v4, 64, v4                                   // 000000002B6C: 680808C0
	buffer_load_dword v35, v4, s[12:15], 0 offen               // 000000002B70: E0501000 80032304
	v_add_u32_e32 v4, 64, v4                                   // 000000002B78: 680808C0
	s_mul_i32 s60, 4, s7                                       // 000000002B7C: 923C0784
	v_lshlrev_b32_e32 v4, 4, v0                                // 000000002B80: 24080084
	v_add_u32_e32 v4, s60, v4                                  // 000000002B84: 6808083C
	buffer_load_dword v3, v4, s[12:15], 0 offen                // 000000002B88: E0501000 80030304
	v_mov_b32_e32 v68, 0                                       // 000000002B90: 7E880280
	v_mov_b32_e32 v92, 0                                       // 000000002B94: 7EB80280
	v_mov_b32_e32 v69, 0                                       // 000000002B98: 7E8A0280
	v_mov_b32_e32 v93, 0                                       // 000000002B9C: 7EBA0280
	v_mov_b32_e32 v70, 0                                       // 000000002BA0: 7E8C0280
	v_mov_b32_e32 v94, 0                                       // 000000002BA4: 7EBC0280
	v_mov_b32_e32 v71, 0                                       // 000000002BA8: 7E8E0280
	v_mov_b32_e32 v95, 0                                       // 000000002BAC: 7EBE0280
	v_mov_b32_e32 v72, 0                                       // 000000002BB0: 7E900280
	v_mov_b32_e32 v96, 0                                       // 000000002BB4: 7EC00280
	v_mov_b32_e32 v73, 0                                       // 000000002BB8: 7E920280
	v_mov_b32_e32 v97, 0                                       // 000000002BBC: 7EC20280
	v_mov_b32_e32 v74, 0                                       // 000000002BC0: 7E940280
	v_mov_b32_e32 v98, 0                                       // 000000002BC4: 7EC40280
	v_mov_b32_e32 v75, 0                                       // 000000002BC8: 7E960280
	v_mov_b32_e32 v99, 0                                       // 000000002BCC: 7EC60280
	v_mov_b32_e32 v76, 0                                       // 000000002BD0: 7E980280
	v_mov_b32_e32 v100, 0                                      // 000000002BD4: 7EC80280
	v_mov_b32_e32 v77, 0                                       // 000000002BD8: 7E9A0280
	v_mov_b32_e32 v101, 0                                      // 000000002BDC: 7ECA0280
	v_mov_b32_e32 v78, 0                                       // 000000002BE0: 7E9C0280
	v_mov_b32_e32 v102, 0                                      // 000000002BE4: 7ECC0280
	v_mov_b32_e32 v79, 0                                       // 000000002BE8: 7E9E0280
	v_mov_b32_e32 v103, 0                                      // 000000002BEC: 7ECE0280
	v_mov_b32_e32 v80, 0                                       // 000000002BF0: 7EA00280
	v_mov_b32_e32 v104, 0                                      // 000000002BF4: 7ED00280
	v_mov_b32_e32 v81, 0                                       // 000000002BF8: 7EA20280
	v_mov_b32_e32 v105, 0                                      // 000000002BFC: 7ED20280
	v_mov_b32_e32 v82, 0                                       // 000000002C00: 7EA40280
	v_mov_b32_e32 v106, 0                                      // 000000002C04: 7ED40280
	v_mov_b32_e32 v83, 0                                       // 000000002C08: 7EA60280
	v_mov_b32_e32 v107, 0                                      // 000000002C0C: 7ED60280
	v_mov_b32_e32 v84, 0                                       // 000000002C10: 7EA80280
	v_mov_b32_e32 v108, 0                                      // 000000002C14: 7ED80280
	v_mov_b32_e32 v85, 0                                       // 000000002C18: 7EAA0280
	v_mov_b32_e32 v109, 0                                      // 000000002C1C: 7EDA0280
	v_mov_b32_e32 v86, 0                                       // 000000002C20: 7EAC0280
	v_mov_b32_e32 v110, 0                                      // 000000002C24: 7EDC0280
	v_mov_b32_e32 v87, 0                                       // 000000002C28: 7EAE0280
	v_mov_b32_e32 v111, 0                                      // 000000002C2C: 7EDE0280
	v_mov_b32_e32 v88, 0                                       // 000000002C30: 7EB00280
	v_mov_b32_e32 v112, 0                                      // 000000002C34: 7EE00280
	v_mov_b32_e32 v89, 0                                       // 000000002C38: 7EB20280
	v_mov_b32_e32 v113, 0                                      // 000000002C3C: 7EE20280
	v_mov_b32_e32 v90, 0                                       // 000000002C40: 7EB40280
	v_mov_b32_e32 v114, 0                                      // 000000002C44: 7EE40280
	v_mov_b32_e32 v91, 0                                       // 000000002C48: 7EB60280
	v_mov_b32_e32 v115, 0                                      // 000000002C4C: 7EE60280
	s_mul_i32 s60, s2, 0x80                                    // 000000002C50: 923CFF02 00000080
	s_cmp_eq_u32 s88, 0                                        // 000000002C58: BF068058
	s_cselect_b32 s61, 1, 2                                    // 000000002C5C: 853D8281
	s_mul_i32 s60, s60, s61                                    // 000000002C60: 923C3D3C
	s_mov_b32 s90, s8                                          // 000000002C64: BEDA0008
	s_mov_b32 s91, s9                                          // 000000002C68: BEDB0009
	s_add_u32 s8, s60, s8                                      // 000000002C6C: 8008083C
	s_addc_u32 s9, 0, s9                                       // 000000002C70: 82090980
	v_lshrrev_b32_e32 v4, 4, v0                                // 000000002C74: 20080084
	v_mul_lo_u32 v20, 34, v4                                   // 000000002C78: D2850014 000208A2
	v_and_b32_e32 v4, 15, v0                                   // 000000002C80: 2608008F
	v_mul_lo_u32 v5, 2, v4                                     // 000000002C84: D2850005 00020882
	v_add_u32_e32 v20, v5, v20                                 // 000000002C8C: 68282905
	s_mul_i32 s60, s7, 0x88                                    // 000000002C90: 923CFF07 00000088
	v_add_u32_e32 v20, s60, v20                                // 000000002C98: 6828283C
	v_lshlrev_b32_e32 v20, 2, v20                              // 000000002C9C: 24282882
	v_and_b32_e32 v4, 31, v0                                   // 000000002CA0: 2608009F
	v_lshrrev_b32_e32 v4, 1, v4                                // 000000002CA4: 20080881
	v_mul_lo_u32 v21, 34, v4                                   // 000000002CA8: D2850015 000208A2
	v_lshrrev_b32_e32 v4, 5, v0                                // 000000002CB0: 20080085
	v_mul_lo_u32 v4, 8, v4                                     // 000000002CB4: D2850004 00020888
	v_add_u32_e32 v21, v21, v4                                 // 000000002CBC: 682A0915
	v_and_b32_e32 v5, 1, v0                                    // 000000002CC0: 260A0081
	v_add_u32_e32 v21, v5, v21                                 // 000000002CC4: 682A2B05
	s_mul_i32 s60, s7, 2                                       // 000000002CC8: 923C8207
	v_add_u32_e32 v21, s60, v21                                // 000000002CCC: 682A2A3C
	v_lshlrev_b32_e32 v21, 2, v21                              // 000000002CD0: 242A2A82
	s_mul_i32 s60, s7, 0xc20                                   // 000000002CD4: 923CFF07 00000C20
	s_add_u32 s48, 0, s60                                      // 000000002CDC: 80303C80
	s_add_u32 s49, 0x3080, s48                                 // 000000002CE0: 803130FF 00003080
	s_add_u32 s50, 0x3080, s49                                 // 000000002CE8: 803231FF 00003080
	v_lshrrev_b32_e32 v4, 4, v0                                // 000000002CF0: 20080084
	v_lshlrev_b32_e32 v5, 2, v4                                // 000000002CF4: 240A0882
	v_and_b32_e32 v4, 15, v0                                   // 000000002CF8: 2608008F
	v_lshrrev_b32_e32 v6, 2, v4                                // 000000002CFC: 200C0882
	v_lshlrev_b32_e32 v6, 5, v6                                // 000000002D00: 240C0C85
	v_add_u32_e32 v5, v6, v5                                   // 000000002D04: 680A0B06
	v_and_b32_e32 v4, 3, v0                                    // 000000002D08: 26080083
	v_mul_u32_u24_e32 v6, 0x308, v4                            // 000000002D0C: 100C08FF 00000308
	v_add_u32_e32 v5, v6, v5                                   // 000000002D14: 680A0B06
	v_lshlrev_b32_e32 v2, 2, v5                                // 000000002D18: 24040A82
	s_waitcnt lgkmcnt(0)                                       // 000000002D1C: BF8CC07F
	s_mul_i32 s60, s2, 64                                      // 000000002D20: 923CC002
	s_mul_i32 s60, s60, s69                                    // 000000002D24: 923C453C
	s_mul_i32 s61, s5, s72                                     // 000000002D28: 923D4805
	s_add_u32 s60, s61, s60                                    // 000000002D2C: 803C3C3D
	s_add_u32 s24, s60, s24                                    // 000000002D30: 8018183C
	s_addc_u32 s25, 0, s25                                     // 000000002D34: 82191980
	s_lshr_b32 s60, s64, s88                                   // 000000002D38: 8F3C5840
	s_mul_i32 s60, s4, s60                                     // 000000002D3C: 923C3C04
	s_lshr_b32 s60, s60, 7                                     // 000000002D40: 8F3C873C
	s_mul_i32 s60, s60, 0x800                                  // 000000002D44: 923CFF3C 00000800
	s_add_u32 s24, s60, s24                                    // 000000002D4C: 8018183C
	s_addc_u32 s25, 0, s25                                     // 000000002D50: 82191980
	s_lshr_b32 s60, s69, s88                                   // 000000002D54: 8F3C5845
	s_mul_i32 s60, s4, s60                                     // 000000002D58: 923C3C04
	s_add_u32 s20, s60, s20                                    // 000000002D5C: 8014143C
	s_addc_u32 s21, 0, s21                                     // 000000002D60: 82151580
	s_mul_i32 s60, s7, 16                                      // 000000002D64: 923C9007
	s_mul_i32 s60, s60, s69                                    // 000000002D68: 923C453C
	v_lshlrev_b32_e32 v66, 4, v0                               // 000000002D6C: 24840084
	v_add_u32_e32 v66, s60, v66                                // 000000002D70: 6884843C
	s_mul_i32 s60, 64, s69                                     // 000000002D74: 923C45C0
	s_mov_b32 s84, s24                                         // 000000002D78: BED40018
	s_mov_b32 s85, s25                                         // 000000002D7C: BED50019
	s_mov_b32 s86, s26                                         // 000000002D80: BED6001A
	s_mov_b32 s87, s27                                         // 000000002D84: BED7001B
	s_mul_i32 s60, s69, s65                                    // 000000002D88: 923C4145
	s_add_u32 s84, s60, s84                                    // 000000002D8C: 8054543C
	s_addc_u32 s85, 0, s85                                     // 000000002D90: 82555580
	v_lshrrev_b32_e32 v4, 4, v0                                // 000000002D94: 20080084
	v_lshlrev_b32_e32 v5, 2, v4                                // 000000002D98: 240A0882
	v_and_b32_e32 v4, 15, v0                                   // 000000002D9C: 2608008F
	v_lshrrev_b32_e32 v6, 2, v4                                // 000000002DA0: 200C0882
	v_lshlrev_b32_e32 v6, 6, v6                                // 000000002DA4: 240C0C86
	v_add_u32_e32 v5, v6, v5                                   // 000000002DA8: 680A0B06
	v_and_b32_e32 v4, 3, v0                                    // 000000002DAC: 26080083
	v_add_u32_e32 v5, v4, v5                                   // 000000002DB0: 680A0B04
	v_lshlrev_b32_e32 v22, 2, v5                               // 000000002DB4: 242C0A82
	s_mul_i32 s60, s7, 16                                      // 000000002DB8: 923C9007
	s_mul_i32 s60, s60, 4                                      // 000000002DBC: 923C843C
	v_add_u32_e32 v22, s60, v22                                // 000000002DC0: 682C2C3C
	s_mul_i32 s60, s2, 64                                      // 000000002DC4: 923CC002
	s_mul_i32 s60, s60, 4                                      // 000000002DC8: 923C843C
	s_mul_i32 s61, s5, s74                                     // 000000002DCC: 923D4A05
	s_add_u32 s61, s61, s60                                    // 000000002DD0: 803D3C3D
	s_add_u32 s32, s61, s32                                    // 000000002DD4: 8020203D
	s_addc_u32 s33, 0, s33                                     // 000000002DD8: 82212180
	s_mov_b32 s57, 0x80                                        // 000000002DDC: BEB900FF 00000080
	s_mov_b32 s58, 0x800                                       // 000000002DE4: BEBA00FF 00000800
	s_mov_b32 s83, s58                                         // 000000002DEC: BED3003A
	s_mov_b32 s52, 0x7060302                                   // 000000002DF0: BEB400FF 07060302
	s_mov_b32 s53, 0x400                                       // 000000002DF8: BEB500FF 00000400
	s_mov_b32 s54, 0x40100                                     // 000000002E00: BEB600FF 00040100
	s_mov_b32 s55, 0x4020100                                   // 000000002E08: BEB700FF 04020100
	s_mov_b32 s6, 0x3fb8aa3b                                   // 000000002E10: BE8600FF 3FB8AA3B
	s_mov_b32 s78, 0xbd92220c                                  // 000000002E18: BECE00FF BD92220C
	s_mov_b32 s79, 0xbd92220c                                  // 000000002E20: BECF00FF BD92220C
	s_mov_b32 m0, s48                                          // 000000002E28: BEFC0030
	v_mov_b32_e32 v1, 0xbfcc4231                               // 000000002E2C: 7E0202FF BFCC4231
	v_mov_b32_e32 v17, 0xffff0000                              // 000000002E34: 7E2202FF FFFF0000
	v_mov_b32_e32 v18, 0x7fff0000                              // 000000002E3C: 7E2402FF 7FFF0000
	v_mov_b32_e32 v19, 0x7fff                                  // 000000002E44: 7E2602FF 00007FFF
	s_waitcnt vmcnt(0) expcnt(0) lgkmcnt(0)                    // 000000002E4C: BF8C0000
	v_lshrrev_b32_e32 v4, 5, v0                                // 000000002E50: 20080085
	v_xor_b32_e32 v5, 1, v4                                    // 000000002E54: 2A0A0881
	v_readlane_b32 s82, v3, 0                                  // 000000002E58: D2890052 00010103
	s_and_b32 s82, s82, 0xffffff                               // 000000002E60: 8652FF52 00FFFFFF
	v_mul_lo_u32 v6, v5, s82                                   // 000000002E68: D2850006 0000A505
	v_readlane_b32 s82, v3, 1                                  // 000000002E70: D2890052 00010303
	s_and_b32 s82, s82, 0xffffff                               // 000000002E78: 8652FF52 00FFFFFF
	v_mul_lo_u32 v7, v4, s82                                   // 000000002E80: D2850007 0000A504
	v_add_u32_e32 v54, v6, v7                                  // 000000002E88: 686C0F06
	v_mul_lo_u32 v54, v54, s68                                 // 000000002E8C: D2850036 00008936
	v_readlane_b32 s82, v3, 2                                  // 000000002E94: D2890052 00010503
	s_and_b32 s82, s82, 0xffffff                               // 000000002E9C: 8652FF52 00FFFFFF
	v_mul_lo_u32 v6, v5, s82                                   // 000000002EA4: D2850006 0000A505
	v_readlane_b32 s82, v3, 3                                  // 000000002EAC: D2890052 00010703
	s_and_b32 s82, s82, 0xffffff                               // 000000002EB4: 8652FF52 00FFFFFF
	v_mul_lo_u32 v7, v4, s82                                   // 000000002EBC: D2850007 0000A504
	v_add_u32_e32 v55, v6, v7                                  // 000000002EC4: 686E0F06
	v_mul_lo_u32 v55, v55, s68                                 // 000000002EC8: D2850037 00008937
	v_readlane_b32 s82, v3, 4                                  // 000000002ED0: D2890052 00010903
	s_and_b32 s82, s82, 0xffffff                               // 000000002ED8: 8652FF52 00FFFFFF
	v_mul_lo_u32 v6, v5, s82                                   // 000000002EE0: D2850006 0000A505
	v_readlane_b32 s82, v3, 5                                  // 000000002EE8: D2890052 00010B03
	s_and_b32 s82, s82, 0xffffff                               // 000000002EF0: 8652FF52 00FFFFFF
	v_mul_lo_u32 v7, v4, s82                                   // 000000002EF8: D2850007 0000A504
	v_add_u32_e32 v56, v6, v7                                  // 000000002F00: 68700F06
	v_mul_lo_u32 v56, v56, s68                                 // 000000002F04: D2850038 00008938
	v_readlane_b32 s82, v3, 6                                  // 000000002F0C: D2890052 00010D03
	s_and_b32 s82, s82, 0xffffff                               // 000000002F14: 8652FF52 00FFFFFF
	v_mul_lo_u32 v6, v5, s82                                   // 000000002F1C: D2850006 0000A505
	v_readlane_b32 s82, v3, 7                                  // 000000002F24: D2890052 00010F03
	s_and_b32 s82, s82, 0xffffff                               // 000000002F2C: 8652FF52 00FFFFFF
	v_mul_lo_u32 v7, v4, s82                                   // 000000002F34: D2850007 0000A504
	v_add_u32_e32 v57, v6, v7                                  // 000000002F3C: 68720F06
	v_mul_lo_u32 v57, v57, s68                                 // 000000002F40: D2850039 00008939
	v_readlane_b32 s82, v3, 8                                  // 000000002F48: D2890052 00011103
	s_and_b32 s82, s82, 0xffffff                               // 000000002F50: 8652FF52 00FFFFFF
	v_mul_lo_u32 v6, v5, s82                                   // 000000002F58: D2850006 0000A505
	v_readlane_b32 s82, v3, 9                                  // 000000002F60: D2890052 00011303
	s_and_b32 s82, s82, 0xffffff                               // 000000002F68: 8652FF52 00FFFFFF
	v_mul_lo_u32 v7, v4, s82                                   // 000000002F70: D2850007 0000A504
	v_add_u32_e32 v58, v6, v7                                  // 000000002F78: 68740F06
	v_mul_lo_u32 v58, v58, s68                                 // 000000002F7C: D285003A 0000893A
	v_readlane_b32 s82, v3, 10                                 // 000000002F84: D2890052 00011503
	s_and_b32 s82, s82, 0xffffff                               // 000000002F8C: 8652FF52 00FFFFFF
	v_mul_lo_u32 v6, v5, s82                                   // 000000002F94: D2850006 0000A505
	v_readlane_b32 s82, v3, 11                                 // 000000002F9C: D2890052 00011703
	s_and_b32 s82, s82, 0xffffff                               // 000000002FA4: 8652FF52 00FFFFFF
	v_mul_lo_u32 v7, v4, s82                                   // 000000002FAC: D2850007 0000A504
	v_add_u32_e32 v59, v6, v7                                  // 000000002FB4: 68760F06
	v_mul_lo_u32 v59, v59, s68                                 // 000000002FB8: D285003B 0000893B
	v_readlane_b32 s82, v3, 12                                 // 000000002FC0: D2890052 00011903
	s_and_b32 s82, s82, 0xffffff                               // 000000002FC8: 8652FF52 00FFFFFF
	v_mul_lo_u32 v6, v5, s82                                   // 000000002FD0: D2850006 0000A505
	v_readlane_b32 s82, v3, 13                                 // 000000002FD8: D2890052 00011B03
	s_and_b32 s82, s82, 0xffffff                               // 000000002FE0: 8652FF52 00FFFFFF
	v_mul_lo_u32 v7, v4, s82                                   // 000000002FE8: D2850007 0000A504
	v_add_u32_e32 v60, v6, v7                                  // 000000002FF0: 68780F06
	v_mul_lo_u32 v60, v60, s68                                 // 000000002FF4: D285003C 0000893C
	v_readlane_b32 s82, v3, 14                                 // 000000002FFC: D2890052 00011D03
	s_and_b32 s82, s82, 0xffffff                               // 000000003004: 8652FF52 00FFFFFF
	v_mul_lo_u32 v6, v5, s82                                   // 00000000300C: D2850006 0000A505
	v_readlane_b32 s82, v3, 15                                 // 000000003014: D2890052 00011F03
	s_and_b32 s82, s82, 0xffffff                               // 00000000301C: 8652FF52 00FFFFFF
	v_mul_lo_u32 v7, v4, s82                                   // 000000003024: D2850007 0000A504
	v_add_u32_e32 v61, v6, v7                                  // 00000000302C: 687A0F06
	v_mul_lo_u32 v61, v61, s68                                 // 000000003030: D285003D 0000893D
	v_readlane_b32 s82, v3, 16                                 // 000000003038: D2890052 00012103
	s_and_b32 s82, s82, 0xffffff                               // 000000003040: 8652FF52 00FFFFFF
	v_mul_lo_u32 v6, v5, s82                                   // 000000003048: D2850006 0000A505
	v_readlane_b32 s82, v3, 17                                 // 000000003050: D2890052 00012303
	s_and_b32 s82, s82, 0xffffff                               // 000000003058: 8652FF52 00FFFFFF
	v_mul_lo_u32 v7, v4, s82                                   // 000000003060: D2850007 0000A504
	v_add_u32_e32 v62, v6, v7                                  // 000000003068: 687C0F06
	v_mul_lo_u32 v62, v62, s68                                 // 00000000306C: D285003E 0000893E
	v_readlane_b32 s82, v3, 18                                 // 000000003074: D2890052 00012503
	s_and_b32 s82, s82, 0xffffff                               // 00000000307C: 8652FF52 00FFFFFF
	v_mul_lo_u32 v6, v5, s82                                   // 000000003084: D2850006 0000A505
	v_readlane_b32 s82, v3, 19                                 // 00000000308C: D2890052 00012703
	s_and_b32 s82, s82, 0xffffff                               // 000000003094: 8652FF52 00FFFFFF
	v_mul_lo_u32 v7, v4, s82                                   // 00000000309C: D2850007 0000A504
	v_add_u32_e32 v63, v6, v7                                  // 0000000030A4: 687E0F06
	v_mul_lo_u32 v63, v63, s68                                 // 0000000030A8: D285003F 0000893F
	v_readlane_b32 s82, v3, 20                                 // 0000000030B0: D2890052 00012903
	s_and_b32 s82, s82, 0xffffff                               // 0000000030B8: 8652FF52 00FFFFFF
	v_mul_lo_u32 v6, v5, s82                                   // 0000000030C0: D2850006 0000A505
	v_readlane_b32 s82, v3, 21                                 // 0000000030C8: D2890052 00012B03
	s_and_b32 s82, s82, 0xffffff                               // 0000000030D0: 8652FF52 00FFFFFF
	v_mul_lo_u32 v7, v4, s82                                   // 0000000030D8: D2850007 0000A504
	v_add_u32_e32 v64, v6, v7                                  // 0000000030E0: 68800F06
	v_mul_lo_u32 v64, v64, s68                                 // 0000000030E4: D2850040 00008940
	v_readlane_b32 s82, v3, 22                                 // 0000000030EC: D2890052 00012D03
	s_and_b32 s82, s82, 0xffffff                               // 0000000030F4: 8652FF52 00FFFFFF
	v_mul_lo_u32 v6, v5, s82                                   // 0000000030FC: D2850006 0000A505
	v_readlane_b32 s82, v3, 23                                 // 000000003104: D2890052 00012F03
	s_and_b32 s82, s82, 0xffffff                               // 00000000310C: 8652FF52 00FFFFFF
	v_mul_lo_u32 v7, v4, s82                                   // 000000003114: D2850007 0000A504
	v_add_u32_e32 v65, v6, v7                                  // 00000000311C: 68820F06
	v_mul_lo_u32 v65, v65, s68                                 // 000000003120: D2850041 00008941
	v_and_b32_e32 v4, 31, v0                                   // 000000003128: 2608009F
	v_lshlrev_b32_e32 v4, 2, v4                                // 00000000312C: 24080882
	v_add_u32_e32 v54, v54, v4                                 // 000000003130: 686C0936
	v_add_u32_e32 v55, v55, v4                                 // 000000003134: 686E0937
	v_add_u32_e32 v56, v56, v4                                 // 000000003138: 68700938
	v_add_u32_e32 v57, v57, v4                                 // 00000000313C: 68720939
	v_add_u32_e32 v58, v58, v4                                 // 000000003140: 6874093A
	v_add_u32_e32 v59, v59, v4                                 // 000000003144: 6876093B
	v_add_u32_e32 v60, v60, v4                                 // 000000003148: 6878093C
	v_add_u32_e32 v61, v61, v4                                 // 00000000314C: 687A093D
	v_add_u32_e32 v62, v62, v4                                 // 000000003150: 687C093E
	v_add_u32_e32 v63, v63, v4                                 // 000000003154: 687E093F
	v_add_u32_e32 v64, v64, v4                                 // 000000003158: 68800940
	v_add_u32_e32 v65, v65, v4                                 // 00000000315C: 68820941
	v_and_b32_e32 v30, 0xffffff, v30                           // 000000003160: 263C3CFF 00FFFFFF
	v_lshlrev_b32_e32 v30, 2, v30                              // 000000003168: 243C3C82
	v_and_b32_e32 v31, 0xffffff, v31                           // 00000000316C: 263E3EFF 00FFFFFF
	v_lshlrev_b32_e32 v31, 2, v31                              // 000000003174: 243E3E82
	v_and_b32_e32 v32, 0xffffff, v32                           // 000000003178: 264040FF 00FFFFFF
	v_lshlrev_b32_e32 v32, 2, v32                              // 000000003180: 24404082
	v_and_b32_e32 v33, 0xffffff, v33                           // 000000003184: 264242FF 00FFFFFF
	v_lshlrev_b32_e32 v33, 2, v33                              // 00000000318C: 24424282
	v_and_b32_e32 v34, 0xffffff, v34                           // 000000003190: 264444FF 00FFFFFF
	v_lshlrev_b32_e32 v34, 2, v34                              // 000000003198: 24444482
	v_and_b32_e32 v35, 0xffffff, v35                           // 00000000319C: 264646FF 00FFFFFF
	v_lshlrev_b32_e32 v35, 2, v35                              // 0000000031A4: 24464682
	s_lshl_b32 s3, s66, 2                                      // 0000000031A8: 8E038242
	buffer_load_dword v36, v30, s[28:31], 0 offen              // 0000000031AC: E0501000 8007241E
	buffer_load_dword v37, v31, s[28:31], 0 offen              // 0000000031B4: E0501000 8007251F
	buffer_load_dword v38, v32, s[28:31], 0 offen              // 0000000031BC: E0501000 80072620
	buffer_load_dword v39, v33, s[28:31], 0 offen              // 0000000031C4: E0501000 80072721
	buffer_load_dword v40, v34, s[28:31], 0 offen              // 0000000031CC: E0501000 80072822
	buffer_load_dword v41, v35, s[28:31], 0 offen              // 0000000031D4: E0501000 80072923
	buffer_load_dword v24, v22, s[32:35], 0 offen              // 0000000031DC: E0501000 80081816
	s_mul_i32 s60, 4, s65                                      // 0000000031E4: 923C4184
	s_add_u32 s32, s60, s32                                    // 0000000031E8: 8020203C
	s_addc_u32 s33, 0, s33                                     // 0000000031EC: 82212180
	buffer_load_dword v27, v22, s[32:35], 0 offen              // 0000000031F0: E0501000 80081B16
	buffer_load_dword v54, s[20:23], 0 offen lds               // 0000000031F8: E0511000 80050036
	s_add_u32 m0, 0x100, s48                                   // 000000003200: 807C30FF 00000100
	buffer_load_dword v55, s[20:23], 0 offen lds               // 000000003208: E0511000 80050037
	s_add_u32 m0, 0x200, s48                                   // 000000003210: 807C30FF 00000200
	buffer_load_dword v56, s[20:23], 0 offen lds               // 000000003218: E0511000 80050038
	;; [unrolled: 2-line block ×3, first 2 shown]
	s_add_u32 m0, 0x400, s48                                   // 000000003230: 807C30FF 00000400
	buffer_load_dword v58, s[20:23], 0 offen lds               // 000000003238: E0511000 8005003A
	s_add_u32 m0, 0x500, s48                                   // 000000003240: 807C30FF 00000500
	buffer_load_dword v59, s[20:23], 0 offen lds               // 000000003248: E0511000 8005003B
	s_add_u32 m0, 0x600, s48                                   // 000000003250: 807C30FF 00000600
	buffer_load_dword v60, s[20:23], 0 offen lds               // 000000003258: E0511000 8005003C
	s_add_u32 m0, 0x700, s48                                   // 000000003260: 807C30FF 00000700
	buffer_load_dword v61, s[20:23], 0 offen lds               // 000000003268: E0511000 8005003D
	s_add_u32 m0, 0x800, s48                                   // 000000003270: 807C30FF 00000800
	buffer_load_dword v62, s[20:23], 0 offen lds               // 000000003278: E0511000 8005003E
	s_add_u32 m0, 0x900, s48                                   // 000000003280: 807C30FF 00000900
	buffer_load_dword v63, s[20:23], 0 offen lds               // 000000003288: E0511000 8005003F
	s_add_u32 m0, 0xa00, s48                                   // 000000003290: 807C30FF 00000A00
	buffer_load_dword v64, s[20:23], 0 offen lds               // 000000003298: E0511000 80050040
	s_add_u32 m0, 0xb00, s48                                   // 0000000032A0: 807C30FF 00000B00
	buffer_load_dword v65, s[20:23], 0 offen lds               // 0000000032A8: E0511000 80050041
	s_add_u32 m0, 0, s49                                       // 0000000032B0: 807C3180
	s_add_u32 s20, s57, s20                                    // 0000000032B4: 80141439
	s_addc_u32 s21, 0, s21                                     // 0000000032B8: 82151580
	buffer_load_dwordx4 a[96:99], v66, s[24:27], 0 offen       // 0000000032BC: E05C1000 80866042
	buffer_load_dwordx4 a[100:103], v66, s[24:27], 0 offen offset:1024// 0000000032C4: E05C1400 80866442
	s_add_u32 s24, s58, s24                                    // 0000000032CC: 8018183A
	s_addc_u32 s25, 0, s25                                     // 0000000032D0: 82191980
	buffer_load_dword v54, s[20:23], 0 offen lds               // 0000000032D4: E0511000 80050036
	s_add_u32 m0, 0x100, s49                                   // 0000000032DC: 807C31FF 00000100
	buffer_load_dword v55, s[20:23], 0 offen lds               // 0000000032E4: E0511000 80050037
	s_add_u32 m0, 0x200, s49                                   // 0000000032EC: 807C31FF 00000200
	buffer_load_dword v56, s[20:23], 0 offen lds               // 0000000032F4: E0511000 80050038
	s_add_u32 m0, 0x300, s49                                   // 0000000032FC: 807C31FF 00000300
	buffer_load_dword v57, s[20:23], 0 offen lds               // 000000003304: E0511000 80050039
	s_add_u32 m0, 0x400, s49                                   // 00000000330C: 807C31FF 00000400
	buffer_load_dword v58, s[20:23], 0 offen lds               // 000000003314: E0511000 8005003A
	s_add_u32 m0, 0x500, s49                                   // 00000000331C: 807C31FF 00000500
	buffer_load_dword v59, s[20:23], 0 offen lds               // 000000003324: E0511000 8005003B
	s_add_u32 m0, 0x600, s49                                   // 00000000332C: 807C31FF 00000600
	buffer_load_dword v60, s[20:23], 0 offen lds               // 000000003334: E0511000 8005003C
	s_add_u32 m0, 0x700, s49                                   // 00000000333C: 807C31FF 00000700
	buffer_load_dword v61, s[20:23], 0 offen lds               // 000000003344: E0511000 8005003D
	s_add_u32 m0, 0x800, s49                                   // 00000000334C: 807C31FF 00000800
	buffer_load_dword v62, s[20:23], 0 offen lds               // 000000003354: E0511000 8005003E
	s_add_u32 m0, 0x900, s49                                   // 00000000335C: 807C31FF 00000900
	buffer_load_dword v63, s[20:23], 0 offen lds               // 000000003364: E0511000 8005003F
	s_add_u32 m0, 0xa00, s49                                   // 00000000336C: 807C31FF 00000A00
	buffer_load_dword v64, s[20:23], 0 offen lds               // 000000003374: E0511000 80050040
	s_add_u32 m0, 0xb00, s49                                   // 00000000337C: 807C31FF 00000B00
	buffer_load_dword v65, s[20:23], 0 offen lds               // 000000003384: E0511000 80050041
	s_add_u32 m0, 0, s50                                       // 00000000338C: 807C3280
	s_add_u32 s20, s57, s20                                    // 000000003390: 80141439
	s_addc_u32 s21, 0, s21                                     // 000000003394: 82151580
	buffer_load_dwordx4 a[104:107], v66, s[84:87], 0 offen     // 000000003398: E05C1000 80956842
	buffer_load_dwordx4 a[108:111], v66, s[84:87], 0 offen offset:1024// 0000000033A0: E05C1400 80956C42
	s_add_u32 s84, s83, s84                                    // 0000000033A8: 80545453
	s_addc_u32 s85, 0, s85                                     // 0000000033AC: 82555580
	s_waitcnt vmcnt(16)                                        // 0000000033B0: BF8C4F70
	s_barrier                                                  // 0000000033B4: BF8A0000
	ds_read_b128 a[0:3], v2                                    // 0000000033B8: DBFE0000 00000002
	ds_read_b128 a[4:7], v2 offset:64                          // 0000000033C0: DBFE0040 04000002
	ds_read_b128 a[8:11], v2 offset:512                        // 0000000033C8: DBFE0200 08000002
	ds_read_b128 a[12:15], v2 offset:576                       // 0000000033D0: DBFE0240 0C000002
	ds_read_b128 a[16:19], v2 offset:1024                      // 0000000033D8: DBFE0400 10000002
	ds_read_b128 a[20:23], v2 offset:1088                      // 0000000033E0: DBFE0440 14000002
	ds_read_b128 a[24:27], v2 offset:1536                      // 0000000033E8: DBFE0600 18000002
	ds_read_b128 a[28:31], v2 offset:1600                      // 0000000033F0: DBFE0640 1C000002
	ds_read_b128 a[32:35], v2 offset:2048                      // 0000000033F8: DBFE0800 20000002
	ds_read_b128 a[36:39], v2 offset:2112                      // 000000003400: DBFE0840 24000002
	ds_read_b128 a[40:43], v2 offset:2560                      // 000000003408: DBFE0A00 28000002
	ds_read_b128 a[44:47], v2 offset:2624                      // 000000003410: DBFE0A40 2C000002
	s_cmp_lt_i32 s7, 2                                         // 000000003418: BF048207
	s_cbranch_scc0 label_11B3                                  // 00000000341C: BF840EE8

0000000000003420 <label_02C8>:
	s_waitcnt vmcnt(14) lgkmcnt(0)                             // 000000003420: BF8C007E
	v_mfma_f32_16x16x32_fp8_fp8 v[68:71], a[96:97], a[0:1], v[68:71]// 000000003424: D3F30044 1D120160
	v_mfma_f32_16x16x32_fp8_fp8 v[68:71], a[98:99], a[2:3], v[68:71]// 00000000342C: D3F30044 1D120562
	buffer_load_dwordx4 a[112:115], v66, s[24:27], 0 offen     // 000000003434: E05C1000 80867042
	v_mfma_f32_16x16x32_fp8_fp8 v[68:71], a[100:101], a[4:5], v[68:71]// 00000000343C: D3F30044 1D120964
	v_mfma_f32_16x16x32_fp8_fp8 v[68:71], a[102:103], a[6:7], v[68:71]// 000000003444: D3F30044 1D120D66
	v_mfma_f32_16x16x32_fp8_fp8 v[72:75], a[96:97], a[8:9], v[72:75]// 00000000344C: D3F30048 1D221160
	v_mfma_f32_16x16x32_fp8_fp8 v[72:75], a[98:99], a[10:11], v[72:75]// 000000003454: D3F30048 1D221562
	buffer_load_dwordx4 a[116:119], v66, s[24:27], 0 offen offset:1024// 00000000345C: E05C1400 80867442
	buffer_load_dword v54, s[20:23], 0 offen lds               // 000000003464: E0511000 80050036
	s_add_u32 m0, 0x100, s50                                   // 00000000346C: 807C32FF 00000100
	v_mfma_f32_16x16x32_fp8_fp8 v[72:75], a[100:101], a[12:13], v[72:75]// 000000003474: D3F30048 1D221964
	v_mfma_f32_16x16x32_fp8_fp8 v[72:75], a[102:103], a[14:15], v[72:75]// 00000000347C: D3F30048 1D221D66
	buffer_load_dword v55, s[20:23], 0 offen lds               // 000000003484: E0511000 80050037
	s_add_u32 m0, 0x200, s50                                   // 00000000348C: 807C32FF 00000200
	v_mfma_f32_16x16x32_fp8_fp8 v[76:79], a[96:97], a[16:17], v[76:79]// 000000003494: D3F3004C 1D322160
	v_mfma_f32_16x16x32_fp8_fp8 v[76:79], a[98:99], a[18:19], v[76:79]// 00000000349C: D3F3004C 1D322562
	buffer_load_dword v56, s[20:23], 0 offen lds               // 0000000034A4: E0511000 80050038
	s_add_u32 m0, 0x300, s50                                   // 0000000034AC: 807C32FF 00000300
	v_mfma_f32_16x16x32_fp8_fp8 v[76:79], a[100:101], a[20:21], v[76:79]// 0000000034B4: D3F3004C 1D322964
	v_mfma_f32_16x16x32_fp8_fp8 v[76:79], a[102:103], a[22:23], v[76:79]// 0000000034BC: D3F3004C 1D322D66
	buffer_load_dword v57, s[20:23], 0 offen lds               // 0000000034C4: E0511000 80050039
	s_add_u32 m0, 0x400, s50                                   // 0000000034CC: 807C32FF 00000400
	v_mfma_f32_16x16x32_fp8_fp8 v[80:83], a[96:97], a[24:25], v[80:83]// 0000000034D4: D3F30050 1D423160
	v_mfma_f32_16x16x32_fp8_fp8 v[80:83], a[98:99], a[26:27], v[80:83]// 0000000034DC: D3F30050 1D423562
	buffer_load_dword v58, s[20:23], 0 offen lds               // 0000000034E4: E0511000 8005003A
	s_add_u32 m0, 0x500, s50                                   // 0000000034EC: 807C32FF 00000500
	v_mfma_f32_16x16x32_fp8_fp8 v[80:83], a[100:101], a[28:29], v[80:83]// 0000000034F4: D3F30050 1D423964
	v_mfma_f32_16x16x32_fp8_fp8 v[80:83], a[102:103], a[30:31], v[80:83]// 0000000034FC: D3F30050 1D423D66
	buffer_load_dword v59, s[20:23], 0 offen lds               // 000000003504: E0511000 8005003B
	s_add_u32 m0, 0x600, s50                                   // 00000000350C: 807C32FF 00000600
	v_mfma_f32_16x16x32_fp8_fp8 v[84:87], a[96:97], a[32:33], v[84:87]// 000000003514: D3F30054 1D524160
	v_mfma_f32_16x16x32_fp8_fp8 v[84:87], a[98:99], a[34:35], v[84:87]// 00000000351C: D3F30054 1D524562
	buffer_load_dword v60, s[20:23], 0 offen lds               // 000000003524: E0511000 8005003C
	s_add_u32 m0, 0x700, s50                                   // 00000000352C: 807C32FF 00000700
	v_mfma_f32_16x16x32_fp8_fp8 v[84:87], a[100:101], a[36:37], v[84:87]// 000000003534: D3F30054 1D524964
	v_mfma_f32_16x16x32_fp8_fp8 v[84:87], a[102:103], a[38:39], v[84:87]// 00000000353C: D3F30054 1D524D66
	buffer_load_dword v61, s[20:23], 0 offen lds               // 000000003544: E0511000 8005003D
	s_add_u32 m0, 0x800, s50                                   // 00000000354C: 807C32FF 00000800
	v_mfma_f32_16x16x32_fp8_fp8 v[88:91], a[96:97], a[40:41], v[88:91]// 000000003554: D3F30058 1D625160
	v_mfma_f32_16x16x32_fp8_fp8 v[88:91], a[98:99], a[42:43], v[88:91]// 00000000355C: D3F30058 1D625562
	buffer_load_dword v62, s[20:23], 0 offen lds               // 000000003564: E0511000 8005003E
	s_add_u32 m0, 0x900, s50                                   // 00000000356C: 807C32FF 00000900
	v_mfma_f32_16x16x32_fp8_fp8 v[88:91], a[100:101], a[44:45], v[88:91]// 000000003574: D3F30058 1D625964
	v_mfma_f32_16x16x32_fp8_fp8 v[88:91], a[102:103], a[46:47], v[88:91]// 00000000357C: D3F30058 1D625D66
	buffer_load_dword v63, s[20:23], 0 offen lds               // 000000003584: E0511000 8005003F
	s_add_u32 m0, 0xa00, s50                                   // 00000000358C: 807C32FF 00000A00
	buffer_load_dword v64, s[20:23], 0 offen lds               // 000000003594: E0511000 80050040
	s_add_u32 m0, 0xb00, s50                                   // 00000000359C: 807C32FF 00000B00
	buffer_load_dword v65, s[20:23], 0 offen lds               // 0000000035A4: E0511000 80050041
	s_add_u32 m0, 0, s48                                       // 0000000035AC: 807C3080
	s_waitcnt vmcnt(14)                                        // 0000000035B0: BF8C0F7E
	s_barrier                                                  // 0000000035B4: BF8A0000
	v_mfma_f32_16x16x32_fp8_fp8 v[92:95], a[104:105], a[0:1], v[92:95]// 0000000035B8: D3F3005C 1D720168
	v_mfma_f32_16x16x32_fp8_fp8 v[92:95], a[106:107], a[2:3], v[92:95]// 0000000035C0: D3F3005C 1D72056A
	buffer_load_dwordx4 a[96:99], v66, s[84:87], 0 offen       // 0000000035C8: E05C1000 80956042
	v_mfma_f32_16x16x32_fp8_fp8 v[92:95], a[108:109], a[4:5], v[92:95]// 0000000035D0: D3F3005C 1D72096C
	v_mfma_f32_16x16x32_fp8_fp8 v[92:95], a[110:111], a[6:7], v[92:95]// 0000000035D8: D3F3005C 1D720D6E
	ds_read_b128 a[48:51], v2 offset:12416                     // 0000000035E0: DBFE3080 30000002
	ds_read_b128 a[52:55], v2 offset:12480                     // 0000000035E8: DBFE30C0 34000002
	v_mfma_f32_16x16x32_fp8_fp8 v[96:99], a[104:105], a[8:9], v[96:99]// 0000000035F0: D3F30060 1D821168
	v_mfma_f32_16x16x32_fp8_fp8 v[96:99], a[106:107], a[10:11], v[96:99]// 0000000035F8: D3F30060 1D82156A
	buffer_load_dwordx4 a[100:103], v66, s[84:87], 0 offen offset:1024// 000000003600: E05C1400 80956442
	v_mfma_f32_16x16x32_fp8_fp8 v[96:99], a[108:109], a[12:13], v[96:99]// 000000003608: D3F30060 1D82196C
	v_mfma_f32_16x16x32_fp8_fp8 v[96:99], a[110:111], a[14:15], v[96:99]// 000000003610: D3F30060 1D821D6E
	ds_read_b128 a[56:59], v2 offset:12928                     // 000000003618: DBFE3280 38000002
	ds_read_b128 a[60:63], v2 offset:12992                     // 000000003620: DBFE32C0 3C000002
	v_mfma_f32_16x16x32_fp8_fp8 v[100:103], a[104:105], a[16:17], v[100:103]// 000000003628: D3F30064 1D922168
	v_mfma_f32_16x16x32_fp8_fp8 v[100:103], a[106:107], a[18:19], v[100:103]// 000000003630: D3F30064 1D92256A
	v_mfma_f32_16x16x32_fp8_fp8 v[100:103], a[108:109], a[20:21], v[100:103]// 000000003638: D3F30064 1D92296C
	v_mfma_f32_16x16x32_fp8_fp8 v[100:103], a[110:111], a[22:23], v[100:103]// 000000003640: D3F30064 1D922D6E
	ds_read_b128 a[64:67], v2 offset:13440                     // 000000003648: DBFE3480 40000002
	ds_read_b128 a[68:71], v2 offset:13504                     // 000000003650: DBFE34C0 44000002
	v_mfma_f32_16x16x32_fp8_fp8 v[104:107], a[104:105], a[24:25], v[104:107]// 000000003658: D3F30068 1DA23168
	v_mfma_f32_16x16x32_fp8_fp8 v[104:107], a[106:107], a[26:27], v[104:107]// 000000003660: D3F30068 1DA2356A
	v_mfma_f32_16x16x32_fp8_fp8 v[104:107], a[108:109], a[28:29], v[104:107]// 000000003668: D3F30068 1DA2396C
	v_mfma_f32_16x16x32_fp8_fp8 v[104:107], a[110:111], a[30:31], v[104:107]// 000000003670: D3F30068 1DA23D6E
	ds_read_b128 a[72:75], v2 offset:13952                     // 000000003678: DBFE3680 48000002
	ds_read_b128 a[76:79], v2 offset:14016                     // 000000003680: DBFE36C0 4C000002
	v_mfma_f32_16x16x32_fp8_fp8 v[108:111], a[104:105], a[32:33], v[108:111]// 000000003688: D3F3006C 1DB24168
	s_add_u32 s60, 0x180, s80                                  // 000000003690: 803C50FF 00000180
	s_cmp_lt_u32 s60, s81                                      // 000000003698: BF0A513C
	s_cselect_b32 s57, s57, 0                                  // 00000000369C: 85398039
	v_mfma_f32_16x16x32_fp8_fp8 v[108:111], a[106:107], a[34:35], v[108:111]// 0000000036A0: D3F3006C 1DB2456A
	s_add_u32 s60, 0x100, s80                                  // 0000000036A8: 803C50FF 00000100
	s_cmp_lt_u32 s60, s81                                      // 0000000036B0: BF0A513C
	s_cselect_b32 s58, s58, 0                                  // 0000000036B4: 853A803A
	v_mfma_f32_16x16x32_fp8_fp8 v[108:111], a[108:109], a[36:37], v[108:111]// 0000000036B8: D3F3006C 1DB2496C
	s_add_u32 s60, 0x100, s80                                  // 0000000036C0: 803C50FF 00000100
	s_cmp_lt_u32 s60, s81                                      // 0000000036C8: BF0A513C
	s_cselect_b32 s83, s83, 0                                  // 0000000036CC: 85538053
	v_mfma_f32_16x16x32_fp8_fp8 v[108:111], a[110:111], a[38:39], v[108:111]// 0000000036D0: D3F3006C 1DB24D6E
	ds_read_b128 a[80:83], v2 offset:14464                     // 0000000036D8: DBFE3880 50000002
	ds_read_b128 a[84:87], v2 offset:14528                     // 0000000036E0: DBFE38C0 54000002
	s_add_u32 s24, s58, s24                                    // 0000000036E8: 8018183A
	s_addc_u32 s25, 0, s25                                     // 0000000036EC: 82191980
	v_mfma_f32_16x16x32_fp8_fp8 v[112:115], a[104:105], a[40:41], v[112:115]// 0000000036F0: D3F30070 1DC25168
	s_add_u32 s20, s57, s20                                    // 0000000036F8: 80141439
	s_addc_u32 s21, 0, s21                                     // 0000000036FC: 82151580
	v_mfma_f32_16x16x32_fp8_fp8 v[112:115], a[106:107], a[42:43], v[112:115]// 000000003700: D3F30070 1DC2556A
	s_add_u32 s84, s83, s84                                    // 000000003708: 80545453
	s_addc_u32 s85, 0, s85                                     // 00000000370C: 82555580
	v_mfma_f32_16x16x32_fp8_fp8 v[112:115], a[108:109], a[44:45], v[112:115]// 000000003710: D3F30070 1DC2596C
	v_mfma_f32_16x16x32_fp8_fp8 v[112:115], a[110:111], a[46:47], v[112:115]// 000000003718: D3F30070 1DC25D6E
	ds_read_b128 a[88:91], v2 offset:14976                     // 000000003720: DBFE3A80 58000002
	ds_read_b128 a[92:95], v2 offset:15040                     // 000000003728: DBFE3AC0 5C000002
	s_addk_i32 s80, 0x80                                       // 000000003730: B7500080
	s_cmp_lt_i32 s80, s81                                      // 000000003734: BF045150
	s_cbranch_scc0 label_0773                                  // 000000003738: BF8403E4
	s_waitcnt vmcnt(14) lgkmcnt(0)                             // 00000000373C: BF8C007E
	v_mfma_f32_16x16x32_fp8_fp8 v[68:71], a[112:113], a[48:49], v[68:71]// 000000003740: D3F30044 1D126170
	v_mfma_f32_16x16x32_fp8_fp8 v[68:71], a[114:115], a[50:51], v[68:71]// 000000003748: D3F30044 1D126572
	buffer_load_dwordx4 a[104:107], v66, s[24:27], 0 offen     // 000000003750: E05C1000 80866842
	v_mfma_f32_16x16x32_fp8_fp8 v[68:71], a[116:117], a[52:53], v[68:71]// 000000003758: D3F30044 1D126974
	v_mfma_f32_16x16x32_fp8_fp8 v[68:71], a[118:119], a[54:55], v[68:71]// 000000003760: D3F30044 1D126D76
	v_mfma_f32_16x16x32_fp8_fp8 v[72:75], a[112:113], a[56:57], v[72:75]// 000000003768: D3F30048 1D227170
	v_mfma_f32_16x16x32_fp8_fp8 v[72:75], a[114:115], a[58:59], v[72:75]// 000000003770: D3F30048 1D227572
	buffer_load_dwordx4 a[108:111], v66, s[24:27], 0 offen offset:1024// 000000003778: E05C1400 80866C42
	buffer_load_dword v54, s[20:23], 0 offen lds               // 000000003780: E0511000 80050036
	s_add_u32 m0, 0x100, s48                                   // 000000003788: 807C30FF 00000100
	v_mfma_f32_16x16x32_fp8_fp8 v[72:75], a[116:117], a[60:61], v[72:75]// 000000003790: D3F30048 1D227974
	v_mfma_f32_16x16x32_fp8_fp8 v[72:75], a[118:119], a[62:63], v[72:75]// 000000003798: D3F30048 1D227D76
	buffer_load_dword v55, s[20:23], 0 offen lds               // 0000000037A0: E0511000 80050037
	s_add_u32 m0, 0x200, s48                                   // 0000000037A8: 807C30FF 00000200
	v_mfma_f32_16x16x32_fp8_fp8 v[76:79], a[112:113], a[64:65], v[76:79]// 0000000037B0: D3F3004C 1D328170
	v_mfma_f32_16x16x32_fp8_fp8 v[76:79], a[114:115], a[66:67], v[76:79]// 0000000037B8: D3F3004C 1D328572
	buffer_load_dword v56, s[20:23], 0 offen lds               // 0000000037C0: E0511000 80050038
	s_add_u32 m0, 0x300, s48                                   // 0000000037C8: 807C30FF 00000300
	v_mfma_f32_16x16x32_fp8_fp8 v[76:79], a[116:117], a[68:69], v[76:79]// 0000000037D0: D3F3004C 1D328974
	v_mfma_f32_16x16x32_fp8_fp8 v[76:79], a[118:119], a[70:71], v[76:79]// 0000000037D8: D3F3004C 1D328D76
	buffer_load_dword v57, s[20:23], 0 offen lds               // 0000000037E0: E0511000 80050039
	s_add_u32 m0, 0x400, s48                                   // 0000000037E8: 807C30FF 00000400
	v_mfma_f32_16x16x32_fp8_fp8 v[80:83], a[112:113], a[72:73], v[80:83]// 0000000037F0: D3F30050 1D429170
	v_mfma_f32_16x16x32_fp8_fp8 v[80:83], a[114:115], a[74:75], v[80:83]// 0000000037F8: D3F30050 1D429572
	buffer_load_dword v58, s[20:23], 0 offen lds               // 000000003800: E0511000 8005003A
	s_add_u32 m0, 0x500, s48                                   // 000000003808: 807C30FF 00000500
	v_mfma_f32_16x16x32_fp8_fp8 v[80:83], a[116:117], a[76:77], v[80:83]// 000000003810: D3F30050 1D429974
	v_mfma_f32_16x16x32_fp8_fp8 v[80:83], a[118:119], a[78:79], v[80:83]// 000000003818: D3F30050 1D429D76
	buffer_load_dword v59, s[20:23], 0 offen lds               // 000000003820: E0511000 8005003B
	s_add_u32 m0, 0x600, s48                                   // 000000003828: 807C30FF 00000600
	v_mfma_f32_16x16x32_fp8_fp8 v[84:87], a[112:113], a[80:81], v[84:87]// 000000003830: D3F30054 1D52A170
	v_mfma_f32_16x16x32_fp8_fp8 v[84:87], a[114:115], a[82:83], v[84:87]// 000000003838: D3F30054 1D52A572
	buffer_load_dword v60, s[20:23], 0 offen lds               // 000000003840: E0511000 8005003C
	s_add_u32 m0, 0x700, s48                                   // 000000003848: 807C30FF 00000700
	v_mfma_f32_16x16x32_fp8_fp8 v[84:87], a[116:117], a[84:85], v[84:87]// 000000003850: D3F30054 1D52A974
	v_mfma_f32_16x16x32_fp8_fp8 v[84:87], a[118:119], a[86:87], v[84:87]// 000000003858: D3F30054 1D52AD76
	buffer_load_dword v61, s[20:23], 0 offen lds               // 000000003860: E0511000 8005003D
	s_add_u32 m0, 0x800, s48                                   // 000000003868: 807C30FF 00000800
	v_mfma_f32_16x16x32_fp8_fp8 v[88:91], a[112:113], a[88:89], v[88:91]// 000000003870: D3F30058 1D62B170
	v_mfma_f32_16x16x32_fp8_fp8 v[88:91], a[114:115], a[90:91], v[88:91]// 000000003878: D3F30058 1D62B572
	buffer_load_dword v62, s[20:23], 0 offen lds               // 000000003880: E0511000 8005003E
	s_add_u32 m0, 0x900, s48                                   // 000000003888: 807C30FF 00000900
	v_mfma_f32_16x16x32_fp8_fp8 v[88:91], a[116:117], a[92:93], v[88:91]// 000000003890: D3F30058 1D62B974
	v_mfma_f32_16x16x32_fp8_fp8 v[88:91], a[118:119], a[94:95], v[88:91]// 000000003898: D3F30058 1D62BD76
	buffer_load_dword v63, s[20:23], 0 offen lds               // 0000000038A0: E0511000 8005003F
	s_add_u32 m0, 0xa00, s48                                   // 0000000038A8: 807C30FF 00000A00
	buffer_load_dword v64, s[20:23], 0 offen lds               // 0000000038B0: E0511000 80050040
	s_add_u32 m0, 0xb00, s48                                   // 0000000038B8: 807C30FF 00000B00
	buffer_load_dword v65, s[20:23], 0 offen lds               // 0000000038C0: E0511000 80050041
	s_add_u32 m0, 0, s49                                       // 0000000038C8: 807C3180
	s_waitcnt vmcnt(14)                                        // 0000000038CC: BF8C0F7E
	s_barrier                                                  // 0000000038D0: BF8A0000
	v_mfma_f32_16x16x32_fp8_fp8 v[92:95], a[96:97], a[48:49], v[92:95]// 0000000038D4: D3F3005C 1D726160
	v_mfma_f32_16x16x32_fp8_fp8 v[92:95], a[98:99], a[50:51], v[92:95]// 0000000038DC: D3F3005C 1D726562
	buffer_load_dwordx4 a[112:115], v66, s[84:87], 0 offen     // 0000000038E4: E05C1000 80957042
	v_mfma_f32_16x16x32_fp8_fp8 v[92:95], a[100:101], a[52:53], v[92:95]// 0000000038EC: D3F3005C 1D726964
	v_mfma_f32_16x16x32_fp8_fp8 v[92:95], a[102:103], a[54:55], v[92:95]// 0000000038F4: D3F3005C 1D726D66
	ds_read_b128 a[0:3], v2 offset:24832                       // 0000000038FC: DBFE6100 00000002
	ds_read_b128 a[4:7], v2 offset:24896                       // 000000003904: DBFE6140 04000002
	v_mfma_f32_16x16x32_fp8_fp8 v[96:99], a[96:97], a[56:57], v[96:99]// 00000000390C: D3F30060 1D827160
	v_mfma_f32_16x16x32_fp8_fp8 v[96:99], a[98:99], a[58:59], v[96:99]// 000000003914: D3F30060 1D827562
	buffer_load_dwordx4 a[116:119], v66, s[84:87], 0 offen offset:1024// 00000000391C: E05C1400 80957442
	v_mfma_f32_16x16x32_fp8_fp8 v[96:99], a[100:101], a[60:61], v[96:99]// 000000003924: D3F30060 1D827964
	v_mfma_f32_16x16x32_fp8_fp8 v[96:99], a[102:103], a[62:63], v[96:99]// 00000000392C: D3F30060 1D827D66
	ds_read_b128 a[8:11], v2 offset:25344                      // 000000003934: DBFE6300 08000002
	ds_read_b128 a[12:15], v2 offset:25408                     // 00000000393C: DBFE6340 0C000002
	v_mfma_f32_16x16x32_fp8_fp8 v[100:103], a[96:97], a[64:65], v[100:103]// 000000003944: D3F30064 1D928160
	v_mfma_f32_16x16x32_fp8_fp8 v[100:103], a[98:99], a[66:67], v[100:103]// 00000000394C: D3F30064 1D928562
	v_mfma_f32_16x16x32_fp8_fp8 v[100:103], a[100:101], a[68:69], v[100:103]// 000000003954: D3F30064 1D928964
	v_mfma_f32_16x16x32_fp8_fp8 v[100:103], a[102:103], a[70:71], v[100:103]// 00000000395C: D3F30064 1D928D66
	ds_read_b128 a[16:19], v2 offset:25856                     // 000000003964: DBFE6500 10000002
	ds_read_b128 a[20:23], v2 offset:25920                     // 00000000396C: DBFE6540 14000002
	v_mfma_f32_16x16x32_fp8_fp8 v[104:107], a[96:97], a[72:73], v[104:107]// 000000003974: D3F30068 1DA29160
	v_mfma_f32_16x16x32_fp8_fp8 v[104:107], a[98:99], a[74:75], v[104:107]// 00000000397C: D3F30068 1DA29562
	v_mfma_f32_16x16x32_fp8_fp8 v[104:107], a[100:101], a[76:77], v[104:107]// 000000003984: D3F30068 1DA29964
	v_mfma_f32_16x16x32_fp8_fp8 v[104:107], a[102:103], a[78:79], v[104:107]// 00000000398C: D3F30068 1DA29D66
	ds_read_b128 a[24:27], v2 offset:26368                     // 000000003994: DBFE6700 18000002
	ds_read_b128 a[28:31], v2 offset:26432                     // 00000000399C: DBFE6740 1C000002
	v_mfma_f32_16x16x32_fp8_fp8 v[108:111], a[96:97], a[80:81], v[108:111]// 0000000039A4: D3F3006C 1DB2A160
	s_add_u32 s60, 0x180, s80                                  // 0000000039AC: 803C50FF 00000180
	s_cmp_lt_u32 s60, s81                                      // 0000000039B4: BF0A513C
	s_cselect_b32 s57, s57, 0                                  // 0000000039B8: 85398039
	v_mfma_f32_16x16x32_fp8_fp8 v[108:111], a[98:99], a[82:83], v[108:111]// 0000000039BC: D3F3006C 1DB2A562
	s_add_u32 s60, 0x100, s80                                  // 0000000039C4: 803C50FF 00000100
	s_cmp_lt_u32 s60, s81                                      // 0000000039CC: BF0A513C
	s_cselect_b32 s58, s58, 0                                  // 0000000039D0: 853A803A
	v_mfma_f32_16x16x32_fp8_fp8 v[108:111], a[100:101], a[84:85], v[108:111]// 0000000039D4: D3F3006C 1DB2A964
	s_add_u32 s60, 0x100, s80                                  // 0000000039DC: 803C50FF 00000100
	s_cmp_lt_u32 s60, s81                                      // 0000000039E4: BF0A513C
	s_cselect_b32 s83, s83, 0                                  // 0000000039E8: 85538053
	v_mfma_f32_16x16x32_fp8_fp8 v[108:111], a[102:103], a[86:87], v[108:111]// 0000000039EC: D3F3006C 1DB2AD66
	ds_read_b128 a[32:35], v2 offset:26880                     // 0000000039F4: DBFE6900 20000002
	ds_read_b128 a[36:39], v2 offset:26944                     // 0000000039FC: DBFE6940 24000002
	s_add_u32 s24, s58, s24                                    // 000000003A04: 8018183A
	s_addc_u32 s25, 0, s25                                     // 000000003A08: 82191980
	v_mfma_f32_16x16x32_fp8_fp8 v[112:115], a[96:97], a[88:89], v[112:115]// 000000003A0C: D3F30070 1DC2B160
	s_add_u32 s20, s57, s20                                    // 000000003A14: 80141439
	s_addc_u32 s21, 0, s21                                     // 000000003A18: 82151580
	v_mfma_f32_16x16x32_fp8_fp8 v[112:115], a[98:99], a[90:91], v[112:115]// 000000003A1C: D3F30070 1DC2B562
	s_add_u32 s84, s83, s84                                    // 000000003A24: 80545453
	s_addc_u32 s85, 0, s85                                     // 000000003A28: 82555580
	v_mfma_f32_16x16x32_fp8_fp8 v[112:115], a[100:101], a[92:93], v[112:115]// 000000003A2C: D3F30070 1DC2B964
	v_mfma_f32_16x16x32_fp8_fp8 v[112:115], a[102:103], a[94:95], v[112:115]// 000000003A34: D3F30070 1DC2BD66
	ds_read_b128 a[40:43], v2 offset:27392                     // 000000003A3C: DBFE6B00 28000002
	ds_read_b128 a[44:47], v2 offset:27456                     // 000000003A44: DBFE6B40 2C000002
	s_addk_i32 s80, 0x80                                       // 000000003A4C: B7500080
	s_cmp_lt_i32 s80, s81                                      // 000000003A50: BF045150
	s_cbranch_scc0 label_0773                                  // 000000003A54: BF84031D
	s_waitcnt vmcnt(14) lgkmcnt(0)                             // 000000003A58: BF8C007E
	v_mfma_f32_16x16x32_fp8_fp8 v[68:71], a[104:105], a[0:1], v[68:71]// 000000003A5C: D3F30044 1D120168
	v_mfma_f32_16x16x32_fp8_fp8 v[68:71], a[106:107], a[2:3], v[68:71]// 000000003A64: D3F30044 1D12056A
	buffer_load_dwordx4 a[96:99], v66, s[24:27], 0 offen       // 000000003A6C: E05C1000 80866042
	v_mfma_f32_16x16x32_fp8_fp8 v[68:71], a[108:109], a[4:5], v[68:71]// 000000003A74: D3F30044 1D12096C
	v_mfma_f32_16x16x32_fp8_fp8 v[68:71], a[110:111], a[6:7], v[68:71]// 000000003A7C: D3F30044 1D120D6E
	v_mfma_f32_16x16x32_fp8_fp8 v[72:75], a[104:105], a[8:9], v[72:75]// 000000003A84: D3F30048 1D221168
	v_mfma_f32_16x16x32_fp8_fp8 v[72:75], a[106:107], a[10:11], v[72:75]// 000000003A8C: D3F30048 1D22156A
	buffer_load_dwordx4 a[100:103], v66, s[24:27], 0 offen offset:1024// 000000003A94: E05C1400 80866442
	buffer_load_dword v54, s[20:23], 0 offen lds               // 000000003A9C: E0511000 80050036
	s_add_u32 m0, 0x100, s49                                   // 000000003AA4: 807C31FF 00000100
	v_mfma_f32_16x16x32_fp8_fp8 v[72:75], a[108:109], a[12:13], v[72:75]// 000000003AAC: D3F30048 1D22196C
	v_mfma_f32_16x16x32_fp8_fp8 v[72:75], a[110:111], a[14:15], v[72:75]// 000000003AB4: D3F30048 1D221D6E
	buffer_load_dword v55, s[20:23], 0 offen lds               // 000000003ABC: E0511000 80050037
	s_add_u32 m0, 0x200, s49                                   // 000000003AC4: 807C31FF 00000200
	v_mfma_f32_16x16x32_fp8_fp8 v[76:79], a[104:105], a[16:17], v[76:79]// 000000003ACC: D3F3004C 1D322168
	v_mfma_f32_16x16x32_fp8_fp8 v[76:79], a[106:107], a[18:19], v[76:79]// 000000003AD4: D3F3004C 1D32256A
	buffer_load_dword v56, s[20:23], 0 offen lds               // 000000003ADC: E0511000 80050038
	s_add_u32 m0, 0x300, s49                                   // 000000003AE4: 807C31FF 00000300
	v_mfma_f32_16x16x32_fp8_fp8 v[76:79], a[108:109], a[20:21], v[76:79]// 000000003AEC: D3F3004C 1D32296C
	v_mfma_f32_16x16x32_fp8_fp8 v[76:79], a[110:111], a[22:23], v[76:79]// 000000003AF4: D3F3004C 1D322D6E
	buffer_load_dword v57, s[20:23], 0 offen lds               // 000000003AFC: E0511000 80050039
	s_add_u32 m0, 0x400, s49                                   // 000000003B04: 807C31FF 00000400
	v_mfma_f32_16x16x32_fp8_fp8 v[80:83], a[104:105], a[24:25], v[80:83]// 000000003B0C: D3F30050 1D423168
	v_mfma_f32_16x16x32_fp8_fp8 v[80:83], a[106:107], a[26:27], v[80:83]// 000000003B14: D3F30050 1D42356A
	buffer_load_dword v58, s[20:23], 0 offen lds               // 000000003B1C: E0511000 8005003A
	s_add_u32 m0, 0x500, s49                                   // 000000003B24: 807C31FF 00000500
	v_mfma_f32_16x16x32_fp8_fp8 v[80:83], a[108:109], a[28:29], v[80:83]// 000000003B2C: D3F30050 1D42396C
	v_mfma_f32_16x16x32_fp8_fp8 v[80:83], a[110:111], a[30:31], v[80:83]// 000000003B34: D3F30050 1D423D6E
	buffer_load_dword v59, s[20:23], 0 offen lds               // 000000003B3C: E0511000 8005003B
	s_add_u32 m0, 0x600, s49                                   // 000000003B44: 807C31FF 00000600
	v_mfma_f32_16x16x32_fp8_fp8 v[84:87], a[104:105], a[32:33], v[84:87]// 000000003B4C: D3F30054 1D524168
	v_mfma_f32_16x16x32_fp8_fp8 v[84:87], a[106:107], a[34:35], v[84:87]// 000000003B54: D3F30054 1D52456A
	buffer_load_dword v60, s[20:23], 0 offen lds               // 000000003B5C: E0511000 8005003C
	s_add_u32 m0, 0x700, s49                                   // 000000003B64: 807C31FF 00000700
	v_mfma_f32_16x16x32_fp8_fp8 v[84:87], a[108:109], a[36:37], v[84:87]// 000000003B6C: D3F30054 1D52496C
	v_mfma_f32_16x16x32_fp8_fp8 v[84:87], a[110:111], a[38:39], v[84:87]// 000000003B74: D3F30054 1D524D6E
	buffer_load_dword v61, s[20:23], 0 offen lds               // 000000003B7C: E0511000 8005003D
	s_add_u32 m0, 0x800, s49                                   // 000000003B84: 807C31FF 00000800
	v_mfma_f32_16x16x32_fp8_fp8 v[88:91], a[104:105], a[40:41], v[88:91]// 000000003B8C: D3F30058 1D625168
	v_mfma_f32_16x16x32_fp8_fp8 v[88:91], a[106:107], a[42:43], v[88:91]// 000000003B94: D3F30058 1D62556A
	buffer_load_dword v62, s[20:23], 0 offen lds               // 000000003B9C: E0511000 8005003E
	s_add_u32 m0, 0x900, s49                                   // 000000003BA4: 807C31FF 00000900
	v_mfma_f32_16x16x32_fp8_fp8 v[88:91], a[108:109], a[44:45], v[88:91]// 000000003BAC: D3F30058 1D62596C
	v_mfma_f32_16x16x32_fp8_fp8 v[88:91], a[110:111], a[46:47], v[88:91]// 000000003BB4: D3F30058 1D625D6E
	buffer_load_dword v63, s[20:23], 0 offen lds               // 000000003BBC: E0511000 8005003F
	s_add_u32 m0, 0xa00, s49                                   // 000000003BC4: 807C31FF 00000A00
	buffer_load_dword v64, s[20:23], 0 offen lds               // 000000003BCC: E0511000 80050040
	s_add_u32 m0, 0xb00, s49                                   // 000000003BD4: 807C31FF 00000B00
	buffer_load_dword v65, s[20:23], 0 offen lds               // 000000003BDC: E0511000 80050041
	s_add_u32 m0, 0, s50                                       // 000000003BE4: 807C3280
	s_waitcnt vmcnt(14)                                        // 000000003BE8: BF8C0F7E
	s_barrier                                                  // 000000003BEC: BF8A0000
	v_mfma_f32_16x16x32_fp8_fp8 v[92:95], a[112:113], a[0:1], v[92:95]// 000000003BF0: D3F3005C 1D720170
	v_mfma_f32_16x16x32_fp8_fp8 v[92:95], a[114:115], a[2:3], v[92:95]// 000000003BF8: D3F3005C 1D720572
	buffer_load_dwordx4 a[104:107], v66, s[84:87], 0 offen     // 000000003C00: E05C1000 80956842
	v_mfma_f32_16x16x32_fp8_fp8 v[92:95], a[116:117], a[4:5], v[92:95]// 000000003C08: D3F3005C 1D720974
	v_mfma_f32_16x16x32_fp8_fp8 v[92:95], a[118:119], a[6:7], v[92:95]// 000000003C10: D3F3005C 1D720D76
	ds_read_b128 a[48:51], v2                                  // 000000003C18: DBFE0000 30000002
	ds_read_b128 a[52:55], v2 offset:64                        // 000000003C20: DBFE0040 34000002
	v_mfma_f32_16x16x32_fp8_fp8 v[96:99], a[112:113], a[8:9], v[96:99]// 000000003C28: D3F30060 1D821170
	v_mfma_f32_16x16x32_fp8_fp8 v[96:99], a[114:115], a[10:11], v[96:99]// 000000003C30: D3F30060 1D821572
	buffer_load_dwordx4 a[108:111], v66, s[84:87], 0 offen offset:1024// 000000003C38: E05C1400 80956C42
	v_mfma_f32_16x16x32_fp8_fp8 v[96:99], a[116:117], a[12:13], v[96:99]// 000000003C40: D3F30060 1D821974
	v_mfma_f32_16x16x32_fp8_fp8 v[96:99], a[118:119], a[14:15], v[96:99]// 000000003C48: D3F30060 1D821D76
	ds_read_b128 a[56:59], v2 offset:512                       // 000000003C50: DBFE0200 38000002
	ds_read_b128 a[60:63], v2 offset:576                       // 000000003C58: DBFE0240 3C000002
	v_mfma_f32_16x16x32_fp8_fp8 v[100:103], a[112:113], a[16:17], v[100:103]// 000000003C60: D3F30064 1D922170
	v_mfma_f32_16x16x32_fp8_fp8 v[100:103], a[114:115], a[18:19], v[100:103]// 000000003C68: D3F30064 1D922572
	v_mfma_f32_16x16x32_fp8_fp8 v[100:103], a[116:117], a[20:21], v[100:103]// 000000003C70: D3F30064 1D922974
	v_mfma_f32_16x16x32_fp8_fp8 v[100:103], a[118:119], a[22:23], v[100:103]// 000000003C78: D3F30064 1D922D76
	ds_read_b128 a[64:67], v2 offset:1024                      // 000000003C80: DBFE0400 40000002
	ds_read_b128 a[68:71], v2 offset:1088                      // 000000003C88: DBFE0440 44000002
	v_mfma_f32_16x16x32_fp8_fp8 v[104:107], a[112:113], a[24:25], v[104:107]// 000000003C90: D3F30068 1DA23170
	v_mfma_f32_16x16x32_fp8_fp8 v[104:107], a[114:115], a[26:27], v[104:107]// 000000003C98: D3F30068 1DA23572
	v_mfma_f32_16x16x32_fp8_fp8 v[104:107], a[116:117], a[28:29], v[104:107]// 000000003CA0: D3F30068 1DA23974
	v_mfma_f32_16x16x32_fp8_fp8 v[104:107], a[118:119], a[30:31], v[104:107]// 000000003CA8: D3F30068 1DA23D76
	ds_read_b128 a[72:75], v2 offset:1536                      // 000000003CB0: DBFE0600 48000002
	ds_read_b128 a[76:79], v2 offset:1600                      // 000000003CB8: DBFE0640 4C000002
	v_mfma_f32_16x16x32_fp8_fp8 v[108:111], a[112:113], a[32:33], v[108:111]// 000000003CC0: D3F3006C 1DB24170
	s_add_u32 s60, 0x180, s80                                  // 000000003CC8: 803C50FF 00000180
	s_cmp_lt_u32 s60, s81                                      // 000000003CD0: BF0A513C
	s_cselect_b32 s57, s57, 0                                  // 000000003CD4: 85398039
	v_mfma_f32_16x16x32_fp8_fp8 v[108:111], a[114:115], a[34:35], v[108:111]// 000000003CD8: D3F3006C 1DB24572
	s_add_u32 s60, 0x100, s80                                  // 000000003CE0: 803C50FF 00000100
	s_cmp_lt_u32 s60, s81                                      // 000000003CE8: BF0A513C
	s_cselect_b32 s58, s58, 0                                  // 000000003CEC: 853A803A
	v_mfma_f32_16x16x32_fp8_fp8 v[108:111], a[116:117], a[36:37], v[108:111]// 000000003CF0: D3F3006C 1DB24974
	s_add_u32 s60, 0x100, s80                                  // 000000003CF8: 803C50FF 00000100
	s_cmp_lt_u32 s60, s81                                      // 000000003D00: BF0A513C
	s_cselect_b32 s83, s83, 0                                  // 000000003D04: 85538053
	v_mfma_f32_16x16x32_fp8_fp8 v[108:111], a[118:119], a[38:39], v[108:111]// 000000003D08: D3F3006C 1DB24D76
	ds_read_b128 a[80:83], v2 offset:2048                      // 000000003D10: DBFE0800 50000002
	ds_read_b128 a[84:87], v2 offset:2112                      // 000000003D18: DBFE0840 54000002
	s_add_u32 s24, s58, s24                                    // 000000003D20: 8018183A
	s_addc_u32 s25, 0, s25                                     // 000000003D24: 82191980
	v_mfma_f32_16x16x32_fp8_fp8 v[112:115], a[112:113], a[40:41], v[112:115]// 000000003D28: D3F30070 1DC25170
	s_add_u32 s20, s57, s20                                    // 000000003D30: 80141439
	s_addc_u32 s21, 0, s21                                     // 000000003D34: 82151580
	v_mfma_f32_16x16x32_fp8_fp8 v[112:115], a[114:115], a[42:43], v[112:115]// 000000003D38: D3F30070 1DC25572
	s_add_u32 s84, s83, s84                                    // 000000003D40: 80545453
	s_addc_u32 s85, 0, s85                                     // 000000003D44: 82555580
	v_mfma_f32_16x16x32_fp8_fp8 v[112:115], a[116:117], a[44:45], v[112:115]// 000000003D48: D3F30070 1DC25974
	v_mfma_f32_16x16x32_fp8_fp8 v[112:115], a[118:119], a[46:47], v[112:115]// 000000003D50: D3F30070 1DC25D76
	ds_read_b128 a[88:91], v2 offset:2560                      // 000000003D58: DBFE0A00 58000002
	ds_read_b128 a[92:95], v2 offset:2624                      // 000000003D60: DBFE0A40 5C000002
	s_addk_i32 s80, 0x80                                       // 000000003D68: B7500080
	s_cmp_lt_i32 s80, s81                                      // 000000003D6C: BF045150
	s_cbranch_scc0 label_0773                                  // 000000003D70: BF840256
	s_waitcnt vmcnt(14) lgkmcnt(0)                             // 000000003D74: BF8C007E
	v_mfma_f32_16x16x32_fp8_fp8 v[68:71], a[96:97], a[48:49], v[68:71]// 000000003D78: D3F30044 1D126160
	v_mfma_f32_16x16x32_fp8_fp8 v[68:71], a[98:99], a[50:51], v[68:71]// 000000003D80: D3F30044 1D126562
	buffer_load_dwordx4 a[112:115], v66, s[24:27], 0 offen     // 000000003D88: E05C1000 80867042
	v_mfma_f32_16x16x32_fp8_fp8 v[68:71], a[100:101], a[52:53], v[68:71]// 000000003D90: D3F30044 1D126964
	v_mfma_f32_16x16x32_fp8_fp8 v[68:71], a[102:103], a[54:55], v[68:71]// 000000003D98: D3F30044 1D126D66
	v_mfma_f32_16x16x32_fp8_fp8 v[72:75], a[96:97], a[56:57], v[72:75]// 000000003DA0: D3F30048 1D227160
	v_mfma_f32_16x16x32_fp8_fp8 v[72:75], a[98:99], a[58:59], v[72:75]// 000000003DA8: D3F30048 1D227562
	buffer_load_dwordx4 a[116:119], v66, s[24:27], 0 offen offset:1024// 000000003DB0: E05C1400 80867442
	buffer_load_dword v54, s[20:23], 0 offen lds               // 000000003DB8: E0511000 80050036
	s_add_u32 m0, 0x100, s50                                   // 000000003DC0: 807C32FF 00000100
	v_mfma_f32_16x16x32_fp8_fp8 v[72:75], a[100:101], a[60:61], v[72:75]// 000000003DC8: D3F30048 1D227964
	v_mfma_f32_16x16x32_fp8_fp8 v[72:75], a[102:103], a[62:63], v[72:75]// 000000003DD0: D3F30048 1D227D66
	buffer_load_dword v55, s[20:23], 0 offen lds               // 000000003DD8: E0511000 80050037
	s_add_u32 m0, 0x200, s50                                   // 000000003DE0: 807C32FF 00000200
	v_mfma_f32_16x16x32_fp8_fp8 v[76:79], a[96:97], a[64:65], v[76:79]// 000000003DE8: D3F3004C 1D328160
	v_mfma_f32_16x16x32_fp8_fp8 v[76:79], a[98:99], a[66:67], v[76:79]// 000000003DF0: D3F3004C 1D328562
	buffer_load_dword v56, s[20:23], 0 offen lds               // 000000003DF8: E0511000 80050038
	s_add_u32 m0, 0x300, s50                                   // 000000003E00: 807C32FF 00000300
	v_mfma_f32_16x16x32_fp8_fp8 v[76:79], a[100:101], a[68:69], v[76:79]// 000000003E08: D3F3004C 1D328964
	v_mfma_f32_16x16x32_fp8_fp8 v[76:79], a[102:103], a[70:71], v[76:79]// 000000003E10: D3F3004C 1D328D66
	buffer_load_dword v57, s[20:23], 0 offen lds               // 000000003E18: E0511000 80050039
	s_add_u32 m0, 0x400, s50                                   // 000000003E20: 807C32FF 00000400
	v_mfma_f32_16x16x32_fp8_fp8 v[80:83], a[96:97], a[72:73], v[80:83]// 000000003E28: D3F30050 1D429160
	v_mfma_f32_16x16x32_fp8_fp8 v[80:83], a[98:99], a[74:75], v[80:83]// 000000003E30: D3F30050 1D429562
	buffer_load_dword v58, s[20:23], 0 offen lds               // 000000003E38: E0511000 8005003A
	s_add_u32 m0, 0x500, s50                                   // 000000003E40: 807C32FF 00000500
	v_mfma_f32_16x16x32_fp8_fp8 v[80:83], a[100:101], a[76:77], v[80:83]// 000000003E48: D3F30050 1D429964
	v_mfma_f32_16x16x32_fp8_fp8 v[80:83], a[102:103], a[78:79], v[80:83]// 000000003E50: D3F30050 1D429D66
	buffer_load_dword v59, s[20:23], 0 offen lds               // 000000003E58: E0511000 8005003B
	s_add_u32 m0, 0x600, s50                                   // 000000003E60: 807C32FF 00000600
	v_mfma_f32_16x16x32_fp8_fp8 v[84:87], a[96:97], a[80:81], v[84:87]// 000000003E68: D3F30054 1D52A160
	v_mfma_f32_16x16x32_fp8_fp8 v[84:87], a[98:99], a[82:83], v[84:87]// 000000003E70: D3F30054 1D52A562
	buffer_load_dword v60, s[20:23], 0 offen lds               // 000000003E78: E0511000 8005003C
	s_add_u32 m0, 0x700, s50                                   // 000000003E80: 807C32FF 00000700
	v_mfma_f32_16x16x32_fp8_fp8 v[84:87], a[100:101], a[84:85], v[84:87]// 000000003E88: D3F30054 1D52A964
	v_mfma_f32_16x16x32_fp8_fp8 v[84:87], a[102:103], a[86:87], v[84:87]// 000000003E90: D3F30054 1D52AD66
	buffer_load_dword v61, s[20:23], 0 offen lds               // 000000003E98: E0511000 8005003D
	s_add_u32 m0, 0x800, s50                                   // 000000003EA0: 807C32FF 00000800
	v_mfma_f32_16x16x32_fp8_fp8 v[88:91], a[96:97], a[88:89], v[88:91]// 000000003EA8: D3F30058 1D62B160
	v_mfma_f32_16x16x32_fp8_fp8 v[88:91], a[98:99], a[90:91], v[88:91]// 000000003EB0: D3F30058 1D62B562
	buffer_load_dword v62, s[20:23], 0 offen lds               // 000000003EB8: E0511000 8005003E
	s_add_u32 m0, 0x900, s50                                   // 000000003EC0: 807C32FF 00000900
	v_mfma_f32_16x16x32_fp8_fp8 v[88:91], a[100:101], a[92:93], v[88:91]// 000000003EC8: D3F30058 1D62B964
	v_mfma_f32_16x16x32_fp8_fp8 v[88:91], a[102:103], a[94:95], v[88:91]// 000000003ED0: D3F30058 1D62BD66
	buffer_load_dword v63, s[20:23], 0 offen lds               // 000000003ED8: E0511000 8005003F
	s_add_u32 m0, 0xa00, s50                                   // 000000003EE0: 807C32FF 00000A00
	buffer_load_dword v64, s[20:23], 0 offen lds               // 000000003EE8: E0511000 80050040
	s_add_u32 m0, 0xb00, s50                                   // 000000003EF0: 807C32FF 00000B00
	buffer_load_dword v65, s[20:23], 0 offen lds               // 000000003EF8: E0511000 80050041
	s_add_u32 m0, 0, s48                                       // 000000003F00: 807C3080
	s_waitcnt vmcnt(14)                                        // 000000003F04: BF8C0F7E
	s_barrier                                                  // 000000003F08: BF8A0000
	v_mfma_f32_16x16x32_fp8_fp8 v[92:95], a[104:105], a[48:49], v[92:95]// 000000003F0C: D3F3005C 1D726168
	v_mfma_f32_16x16x32_fp8_fp8 v[92:95], a[106:107], a[50:51], v[92:95]// 000000003F14: D3F3005C 1D72656A
	buffer_load_dwordx4 a[96:99], v66, s[84:87], 0 offen       // 000000003F1C: E05C1000 80956042
	v_mfma_f32_16x16x32_fp8_fp8 v[92:95], a[108:109], a[52:53], v[92:95]// 000000003F24: D3F3005C 1D72696C
	v_mfma_f32_16x16x32_fp8_fp8 v[92:95], a[110:111], a[54:55], v[92:95]// 000000003F2C: D3F3005C 1D726D6E
	ds_read_b128 a[0:3], v2 offset:12416                       // 000000003F34: DBFE3080 00000002
	ds_read_b128 a[4:7], v2 offset:12480                       // 000000003F3C: DBFE30C0 04000002
	v_mfma_f32_16x16x32_fp8_fp8 v[96:99], a[104:105], a[56:57], v[96:99]// 000000003F44: D3F30060 1D827168
	v_mfma_f32_16x16x32_fp8_fp8 v[96:99], a[106:107], a[58:59], v[96:99]// 000000003F4C: D3F30060 1D82756A
	buffer_load_dwordx4 a[100:103], v66, s[84:87], 0 offen offset:1024// 000000003F54: E05C1400 80956442
	v_mfma_f32_16x16x32_fp8_fp8 v[96:99], a[108:109], a[60:61], v[96:99]// 000000003F5C: D3F30060 1D82796C
	v_mfma_f32_16x16x32_fp8_fp8 v[96:99], a[110:111], a[62:63], v[96:99]// 000000003F64: D3F30060 1D827D6E
	ds_read_b128 a[8:11], v2 offset:12928                      // 000000003F6C: DBFE3280 08000002
	ds_read_b128 a[12:15], v2 offset:12992                     // 000000003F74: DBFE32C0 0C000002
	v_mfma_f32_16x16x32_fp8_fp8 v[100:103], a[104:105], a[64:65], v[100:103]// 000000003F7C: D3F30064 1D928168
	v_mfma_f32_16x16x32_fp8_fp8 v[100:103], a[106:107], a[66:67], v[100:103]// 000000003F84: D3F30064 1D92856A
	v_mfma_f32_16x16x32_fp8_fp8 v[100:103], a[108:109], a[68:69], v[100:103]// 000000003F8C: D3F30064 1D92896C
	v_mfma_f32_16x16x32_fp8_fp8 v[100:103], a[110:111], a[70:71], v[100:103]// 000000003F94: D3F30064 1D928D6E
	ds_read_b128 a[16:19], v2 offset:13440                     // 000000003F9C: DBFE3480 10000002
	ds_read_b128 a[20:23], v2 offset:13504                     // 000000003FA4: DBFE34C0 14000002
	v_mfma_f32_16x16x32_fp8_fp8 v[104:107], a[104:105], a[72:73], v[104:107]// 000000003FAC: D3F30068 1DA29168
	v_mfma_f32_16x16x32_fp8_fp8 v[104:107], a[106:107], a[74:75], v[104:107]// 000000003FB4: D3F30068 1DA2956A
	v_mfma_f32_16x16x32_fp8_fp8 v[104:107], a[108:109], a[76:77], v[104:107]// 000000003FBC: D3F30068 1DA2996C
	v_mfma_f32_16x16x32_fp8_fp8 v[104:107], a[110:111], a[78:79], v[104:107]// 000000003FC4: D3F30068 1DA29D6E
	ds_read_b128 a[24:27], v2 offset:13952                     // 000000003FCC: DBFE3680 18000002
	ds_read_b128 a[28:31], v2 offset:14016                     // 000000003FD4: DBFE36C0 1C000002
	v_mfma_f32_16x16x32_fp8_fp8 v[108:111], a[104:105], a[80:81], v[108:111]// 000000003FDC: D3F3006C 1DB2A168
	s_add_u32 s60, 0x180, s80                                  // 000000003FE4: 803C50FF 00000180
	s_cmp_lt_u32 s60, s81                                      // 000000003FEC: BF0A513C
	s_cselect_b32 s57, s57, 0                                  // 000000003FF0: 85398039
	v_mfma_f32_16x16x32_fp8_fp8 v[108:111], a[106:107], a[82:83], v[108:111]// 000000003FF4: D3F3006C 1DB2A56A
	s_add_u32 s60, 0x100, s80                                  // 000000003FFC: 803C50FF 00000100
	s_cmp_lt_u32 s60, s81                                      // 000000004004: BF0A513C
	s_cselect_b32 s58, s58, 0                                  // 000000004008: 853A803A
	v_mfma_f32_16x16x32_fp8_fp8 v[108:111], a[108:109], a[84:85], v[108:111]// 00000000400C: D3F3006C 1DB2A96C
	s_add_u32 s60, 0x100, s80                                  // 000000004014: 803C50FF 00000100
	s_cmp_lt_u32 s60, s81                                      // 00000000401C: BF0A513C
	s_cselect_b32 s83, s83, 0                                  // 000000004020: 85538053
	v_mfma_f32_16x16x32_fp8_fp8 v[108:111], a[110:111], a[86:87], v[108:111]// 000000004024: D3F3006C 1DB2AD6E
	ds_read_b128 a[32:35], v2 offset:14464                     // 00000000402C: DBFE3880 20000002
	ds_read_b128 a[36:39], v2 offset:14528                     // 000000004034: DBFE38C0 24000002
	s_add_u32 s24, s58, s24                                    // 00000000403C: 8018183A
	s_addc_u32 s25, 0, s25                                     // 000000004040: 82191980
	v_mfma_f32_16x16x32_fp8_fp8 v[112:115], a[104:105], a[88:89], v[112:115]// 000000004044: D3F30070 1DC2B168
	s_add_u32 s20, s57, s20                                    // 00000000404C: 80141439
	s_addc_u32 s21, 0, s21                                     // 000000004050: 82151580
	v_mfma_f32_16x16x32_fp8_fp8 v[112:115], a[106:107], a[90:91], v[112:115]// 000000004054: D3F30070 1DC2B56A
	s_add_u32 s84, s83, s84                                    // 00000000405C: 80545453
	s_addc_u32 s85, 0, s85                                     // 000000004060: 82555580
	v_mfma_f32_16x16x32_fp8_fp8 v[112:115], a[108:109], a[92:93], v[112:115]// 000000004064: D3F30070 1DC2B96C
	v_mfma_f32_16x16x32_fp8_fp8 v[112:115], a[110:111], a[94:95], v[112:115]// 00000000406C: D3F30070 1DC2BD6E
	ds_read_b128 a[40:43], v2 offset:14976                     // 000000004074: DBFE3A80 28000002
	ds_read_b128 a[44:47], v2 offset:15040                     // 00000000407C: DBFE3AC0 2C000002
	s_addk_i32 s80, 0x80                                       // 000000004084: B7500080
	s_cmp_lt_i32 s80, s81                                      // 000000004088: BF045150
	s_cbranch_scc0 label_0773                                  // 00000000408C: BF84018F
	s_waitcnt vmcnt(14) lgkmcnt(0)                             // 000000004090: BF8C007E
	v_mfma_f32_16x16x32_fp8_fp8 v[68:71], a[112:113], a[0:1], v[68:71]// 000000004094: D3F30044 1D120170
	v_mfma_f32_16x16x32_fp8_fp8 v[68:71], a[114:115], a[2:3], v[68:71]// 00000000409C: D3F30044 1D120572
	buffer_load_dwordx4 a[104:107], v66, s[24:27], 0 offen     // 0000000040A4: E05C1000 80866842
	v_mfma_f32_16x16x32_fp8_fp8 v[68:71], a[116:117], a[4:5], v[68:71]// 0000000040AC: D3F30044 1D120974
	v_mfma_f32_16x16x32_fp8_fp8 v[68:71], a[118:119], a[6:7], v[68:71]// 0000000040B4: D3F30044 1D120D76
	v_mfma_f32_16x16x32_fp8_fp8 v[72:75], a[112:113], a[8:9], v[72:75]// 0000000040BC: D3F30048 1D221170
	v_mfma_f32_16x16x32_fp8_fp8 v[72:75], a[114:115], a[10:11], v[72:75]// 0000000040C4: D3F30048 1D221572
	buffer_load_dwordx4 a[108:111], v66, s[24:27], 0 offen offset:1024// 0000000040CC: E05C1400 80866C42
	buffer_load_dword v54, s[20:23], 0 offen lds               // 0000000040D4: E0511000 80050036
	s_add_u32 m0, 0x100, s48                                   // 0000000040DC: 807C30FF 00000100
	v_mfma_f32_16x16x32_fp8_fp8 v[72:75], a[116:117], a[12:13], v[72:75]// 0000000040E4: D3F30048 1D221974
	v_mfma_f32_16x16x32_fp8_fp8 v[72:75], a[118:119], a[14:15], v[72:75]// 0000000040EC: D3F30048 1D221D76
	buffer_load_dword v55, s[20:23], 0 offen lds               // 0000000040F4: E0511000 80050037
	s_add_u32 m0, 0x200, s48                                   // 0000000040FC: 807C30FF 00000200
	v_mfma_f32_16x16x32_fp8_fp8 v[76:79], a[112:113], a[16:17], v[76:79]// 000000004104: D3F3004C 1D322170
	v_mfma_f32_16x16x32_fp8_fp8 v[76:79], a[114:115], a[18:19], v[76:79]// 00000000410C: D3F3004C 1D322572
	buffer_load_dword v56, s[20:23], 0 offen lds               // 000000004114: E0511000 80050038
	s_add_u32 m0, 0x300, s48                                   // 00000000411C: 807C30FF 00000300
	v_mfma_f32_16x16x32_fp8_fp8 v[76:79], a[116:117], a[20:21], v[76:79]// 000000004124: D3F3004C 1D322974
	v_mfma_f32_16x16x32_fp8_fp8 v[76:79], a[118:119], a[22:23], v[76:79]// 00000000412C: D3F3004C 1D322D76
	buffer_load_dword v57, s[20:23], 0 offen lds               // 000000004134: E0511000 80050039
	s_add_u32 m0, 0x400, s48                                   // 00000000413C: 807C30FF 00000400
	v_mfma_f32_16x16x32_fp8_fp8 v[80:83], a[112:113], a[24:25], v[80:83]// 000000004144: D3F30050 1D423170
	v_mfma_f32_16x16x32_fp8_fp8 v[80:83], a[114:115], a[26:27], v[80:83]// 00000000414C: D3F30050 1D423572
	buffer_load_dword v58, s[20:23], 0 offen lds               // 000000004154: E0511000 8005003A
	s_add_u32 m0, 0x500, s48                                   // 00000000415C: 807C30FF 00000500
	v_mfma_f32_16x16x32_fp8_fp8 v[80:83], a[116:117], a[28:29], v[80:83]// 000000004164: D3F30050 1D423974
	v_mfma_f32_16x16x32_fp8_fp8 v[80:83], a[118:119], a[30:31], v[80:83]// 00000000416C: D3F30050 1D423D76
	buffer_load_dword v59, s[20:23], 0 offen lds               // 000000004174: E0511000 8005003B
	s_add_u32 m0, 0x600, s48                                   // 00000000417C: 807C30FF 00000600
	v_mfma_f32_16x16x32_fp8_fp8 v[84:87], a[112:113], a[32:33], v[84:87]// 000000004184: D3F30054 1D524170
	v_mfma_f32_16x16x32_fp8_fp8 v[84:87], a[114:115], a[34:35], v[84:87]// 00000000418C: D3F30054 1D524572
	buffer_load_dword v60, s[20:23], 0 offen lds               // 000000004194: E0511000 8005003C
	s_add_u32 m0, 0x700, s48                                   // 00000000419C: 807C30FF 00000700
	v_mfma_f32_16x16x32_fp8_fp8 v[84:87], a[116:117], a[36:37], v[84:87]// 0000000041A4: D3F30054 1D524974
	v_mfma_f32_16x16x32_fp8_fp8 v[84:87], a[118:119], a[38:39], v[84:87]// 0000000041AC: D3F30054 1D524D76
	buffer_load_dword v61, s[20:23], 0 offen lds               // 0000000041B4: E0511000 8005003D
	s_add_u32 m0, 0x800, s48                                   // 0000000041BC: 807C30FF 00000800
	v_mfma_f32_16x16x32_fp8_fp8 v[88:91], a[112:113], a[40:41], v[88:91]// 0000000041C4: D3F30058 1D625170
	v_mfma_f32_16x16x32_fp8_fp8 v[88:91], a[114:115], a[42:43], v[88:91]// 0000000041CC: D3F30058 1D625572
	buffer_load_dword v62, s[20:23], 0 offen lds               // 0000000041D4: E0511000 8005003E
	s_add_u32 m0, 0x900, s48                                   // 0000000041DC: 807C30FF 00000900
	v_mfma_f32_16x16x32_fp8_fp8 v[88:91], a[116:117], a[44:45], v[88:91]// 0000000041E4: D3F30058 1D625974
	v_mfma_f32_16x16x32_fp8_fp8 v[88:91], a[118:119], a[46:47], v[88:91]// 0000000041EC: D3F30058 1D625D76
	buffer_load_dword v63, s[20:23], 0 offen lds               // 0000000041F4: E0511000 8005003F
	s_add_u32 m0, 0xa00, s48                                   // 0000000041FC: 807C30FF 00000A00
	buffer_load_dword v64, s[20:23], 0 offen lds               // 000000004204: E0511000 80050040
	s_add_u32 m0, 0xb00, s48                                   // 00000000420C: 807C30FF 00000B00
	buffer_load_dword v65, s[20:23], 0 offen lds               // 000000004214: E0511000 80050041
	s_add_u32 m0, 0, s49                                       // 00000000421C: 807C3180
	s_waitcnt vmcnt(14)                                        // 000000004220: BF8C0F7E
	s_barrier                                                  // 000000004224: BF8A0000
	v_mfma_f32_16x16x32_fp8_fp8 v[92:95], a[96:97], a[0:1], v[92:95]// 000000004228: D3F3005C 1D720160
	v_mfma_f32_16x16x32_fp8_fp8 v[92:95], a[98:99], a[2:3], v[92:95]// 000000004230: D3F3005C 1D720562
	buffer_load_dwordx4 a[112:115], v66, s[84:87], 0 offen     // 000000004238: E05C1000 80957042
	v_mfma_f32_16x16x32_fp8_fp8 v[92:95], a[100:101], a[4:5], v[92:95]// 000000004240: D3F3005C 1D720964
	v_mfma_f32_16x16x32_fp8_fp8 v[92:95], a[102:103], a[6:7], v[92:95]// 000000004248: D3F3005C 1D720D66
	ds_read_b128 a[48:51], v2 offset:24832                     // 000000004250: DBFE6100 30000002
	ds_read_b128 a[52:55], v2 offset:24896                     // 000000004258: DBFE6140 34000002
	v_mfma_f32_16x16x32_fp8_fp8 v[96:99], a[96:97], a[8:9], v[96:99]// 000000004260: D3F30060 1D821160
	v_mfma_f32_16x16x32_fp8_fp8 v[96:99], a[98:99], a[10:11], v[96:99]// 000000004268: D3F30060 1D821562
	buffer_load_dwordx4 a[116:119], v66, s[84:87], 0 offen offset:1024// 000000004270: E05C1400 80957442
	v_mfma_f32_16x16x32_fp8_fp8 v[96:99], a[100:101], a[12:13], v[96:99]// 000000004278: D3F30060 1D821964
	v_mfma_f32_16x16x32_fp8_fp8 v[96:99], a[102:103], a[14:15], v[96:99]// 000000004280: D3F30060 1D821D66
	ds_read_b128 a[56:59], v2 offset:25344                     // 000000004288: DBFE6300 38000002
	ds_read_b128 a[60:63], v2 offset:25408                     // 000000004290: DBFE6340 3C000002
	v_mfma_f32_16x16x32_fp8_fp8 v[100:103], a[96:97], a[16:17], v[100:103]// 000000004298: D3F30064 1D922160
	v_mfma_f32_16x16x32_fp8_fp8 v[100:103], a[98:99], a[18:19], v[100:103]// 0000000042A0: D3F30064 1D922562
	v_mfma_f32_16x16x32_fp8_fp8 v[100:103], a[100:101], a[20:21], v[100:103]// 0000000042A8: D3F30064 1D922964
	v_mfma_f32_16x16x32_fp8_fp8 v[100:103], a[102:103], a[22:23], v[100:103]// 0000000042B0: D3F30064 1D922D66
	ds_read_b128 a[64:67], v2 offset:25856                     // 0000000042B8: DBFE6500 40000002
	ds_read_b128 a[68:71], v2 offset:25920                     // 0000000042C0: DBFE6540 44000002
	v_mfma_f32_16x16x32_fp8_fp8 v[104:107], a[96:97], a[24:25], v[104:107]// 0000000042C8: D3F30068 1DA23160
	v_mfma_f32_16x16x32_fp8_fp8 v[104:107], a[98:99], a[26:27], v[104:107]// 0000000042D0: D3F30068 1DA23562
	v_mfma_f32_16x16x32_fp8_fp8 v[104:107], a[100:101], a[28:29], v[104:107]// 0000000042D8: D3F30068 1DA23964
	v_mfma_f32_16x16x32_fp8_fp8 v[104:107], a[102:103], a[30:31], v[104:107]// 0000000042E0: D3F30068 1DA23D66
	ds_read_b128 a[72:75], v2 offset:26368                     // 0000000042E8: DBFE6700 48000002
	ds_read_b128 a[76:79], v2 offset:26432                     // 0000000042F0: DBFE6740 4C000002
	v_mfma_f32_16x16x32_fp8_fp8 v[108:111], a[96:97], a[32:33], v[108:111]// 0000000042F8: D3F3006C 1DB24160
	s_add_u32 s60, 0x180, s80                                  // 000000004300: 803C50FF 00000180
	s_cmp_lt_u32 s60, s81                                      // 000000004308: BF0A513C
	s_cselect_b32 s57, s57, 0                                  // 00000000430C: 85398039
	v_mfma_f32_16x16x32_fp8_fp8 v[108:111], a[98:99], a[34:35], v[108:111]// 000000004310: D3F3006C 1DB24562
	s_add_u32 s60, 0x100, s80                                  // 000000004318: 803C50FF 00000100
	s_cmp_lt_u32 s60, s81                                      // 000000004320: BF0A513C
	s_cselect_b32 s58, s58, 0                                  // 000000004324: 853A803A
	v_mfma_f32_16x16x32_fp8_fp8 v[108:111], a[100:101], a[36:37], v[108:111]// 000000004328: D3F3006C 1DB24964
	s_add_u32 s60, 0x100, s80                                  // 000000004330: 803C50FF 00000100
	s_cmp_lt_u32 s60, s81                                      // 000000004338: BF0A513C
	s_cselect_b32 s83, s83, 0                                  // 00000000433C: 85538053
	v_mfma_f32_16x16x32_fp8_fp8 v[108:111], a[102:103], a[38:39], v[108:111]// 000000004340: D3F3006C 1DB24D66
	ds_read_b128 a[80:83], v2 offset:26880                     // 000000004348: DBFE6900 50000002
	ds_read_b128 a[84:87], v2 offset:26944                     // 000000004350: DBFE6940 54000002
	s_add_u32 s24, s58, s24                                    // 000000004358: 8018183A
	s_addc_u32 s25, 0, s25                                     // 00000000435C: 82191980
	v_mfma_f32_16x16x32_fp8_fp8 v[112:115], a[96:97], a[40:41], v[112:115]// 000000004360: D3F30070 1DC25160
	s_add_u32 s20, s57, s20                                    // 000000004368: 80141439
	s_addc_u32 s21, 0, s21                                     // 00000000436C: 82151580
	v_mfma_f32_16x16x32_fp8_fp8 v[112:115], a[98:99], a[42:43], v[112:115]// 000000004370: D3F30070 1DC25562
	s_add_u32 s84, s83, s84                                    // 000000004378: 80545453
	s_addc_u32 s85, 0, s85                                     // 00000000437C: 82555580
	v_mfma_f32_16x16x32_fp8_fp8 v[112:115], a[100:101], a[44:45], v[112:115]// 000000004380: D3F30070 1DC25964
	v_mfma_f32_16x16x32_fp8_fp8 v[112:115], a[102:103], a[46:47], v[112:115]// 000000004388: D3F30070 1DC25D66
	ds_read_b128 a[88:91], v2 offset:27392                     // 000000004390: DBFE6B00 58000002
	ds_read_b128 a[92:95], v2 offset:27456                     // 000000004398: DBFE6B40 5C000002
	s_addk_i32 s80, 0x80                                       // 0000000043A0: B7500080
	s_cmp_lt_i32 s80, s81                                      // 0000000043A4: BF045150
	s_cbranch_scc0 label_0773                                  // 0000000043A8: BF8400C8
	s_waitcnt vmcnt(14) lgkmcnt(0)                             // 0000000043AC: BF8C007E
	v_mfma_f32_16x16x32_fp8_fp8 v[68:71], a[104:105], a[48:49], v[68:71]// 0000000043B0: D3F30044 1D126168
	v_mfma_f32_16x16x32_fp8_fp8 v[68:71], a[106:107], a[50:51], v[68:71]// 0000000043B8: D3F30044 1D12656A
	buffer_load_dwordx4 a[96:99], v66, s[24:27], 0 offen       // 0000000043C0: E05C1000 80866042
	v_mfma_f32_16x16x32_fp8_fp8 v[68:71], a[108:109], a[52:53], v[68:71]// 0000000043C8: D3F30044 1D12696C
	v_mfma_f32_16x16x32_fp8_fp8 v[68:71], a[110:111], a[54:55], v[68:71]// 0000000043D0: D3F30044 1D126D6E
	v_mfma_f32_16x16x32_fp8_fp8 v[72:75], a[104:105], a[56:57], v[72:75]// 0000000043D8: D3F30048 1D227168
	v_mfma_f32_16x16x32_fp8_fp8 v[72:75], a[106:107], a[58:59], v[72:75]// 0000000043E0: D3F30048 1D22756A
	buffer_load_dwordx4 a[100:103], v66, s[24:27], 0 offen offset:1024// 0000000043E8: E05C1400 80866442
	buffer_load_dword v54, s[20:23], 0 offen lds               // 0000000043F0: E0511000 80050036
	s_add_u32 m0, 0x100, s49                                   // 0000000043F8: 807C31FF 00000100
	v_mfma_f32_16x16x32_fp8_fp8 v[72:75], a[108:109], a[60:61], v[72:75]// 000000004400: D3F30048 1D22796C
	v_mfma_f32_16x16x32_fp8_fp8 v[72:75], a[110:111], a[62:63], v[72:75]// 000000004408: D3F30048 1D227D6E
	buffer_load_dword v55, s[20:23], 0 offen lds               // 000000004410: E0511000 80050037
	s_add_u32 m0, 0x200, s49                                   // 000000004418: 807C31FF 00000200
	v_mfma_f32_16x16x32_fp8_fp8 v[76:79], a[104:105], a[64:65], v[76:79]// 000000004420: D3F3004C 1D328168
	v_mfma_f32_16x16x32_fp8_fp8 v[76:79], a[106:107], a[66:67], v[76:79]// 000000004428: D3F3004C 1D32856A
	buffer_load_dword v56, s[20:23], 0 offen lds               // 000000004430: E0511000 80050038
	s_add_u32 m0, 0x300, s49                                   // 000000004438: 807C31FF 00000300
	v_mfma_f32_16x16x32_fp8_fp8 v[76:79], a[108:109], a[68:69], v[76:79]// 000000004440: D3F3004C 1D32896C
	v_mfma_f32_16x16x32_fp8_fp8 v[76:79], a[110:111], a[70:71], v[76:79]// 000000004448: D3F3004C 1D328D6E
	buffer_load_dword v57, s[20:23], 0 offen lds               // 000000004450: E0511000 80050039
	s_add_u32 m0, 0x400, s49                                   // 000000004458: 807C31FF 00000400
	v_mfma_f32_16x16x32_fp8_fp8 v[80:83], a[104:105], a[72:73], v[80:83]// 000000004460: D3F30050 1D429168
	v_mfma_f32_16x16x32_fp8_fp8 v[80:83], a[106:107], a[74:75], v[80:83]// 000000004468: D3F30050 1D42956A
	buffer_load_dword v58, s[20:23], 0 offen lds               // 000000004470: E0511000 8005003A
	s_add_u32 m0, 0x500, s49                                   // 000000004478: 807C31FF 00000500
	v_mfma_f32_16x16x32_fp8_fp8 v[80:83], a[108:109], a[76:77], v[80:83]// 000000004480: D3F30050 1D42996C
	v_mfma_f32_16x16x32_fp8_fp8 v[80:83], a[110:111], a[78:79], v[80:83]// 000000004488: D3F30050 1D429D6E
	buffer_load_dword v59, s[20:23], 0 offen lds               // 000000004490: E0511000 8005003B
	s_add_u32 m0, 0x600, s49                                   // 000000004498: 807C31FF 00000600
	v_mfma_f32_16x16x32_fp8_fp8 v[84:87], a[104:105], a[80:81], v[84:87]// 0000000044A0: D3F30054 1D52A168
	v_mfma_f32_16x16x32_fp8_fp8 v[84:87], a[106:107], a[82:83], v[84:87]// 0000000044A8: D3F30054 1D52A56A
	buffer_load_dword v60, s[20:23], 0 offen lds               // 0000000044B0: E0511000 8005003C
	s_add_u32 m0, 0x700, s49                                   // 0000000044B8: 807C31FF 00000700
	v_mfma_f32_16x16x32_fp8_fp8 v[84:87], a[108:109], a[84:85], v[84:87]// 0000000044C0: D3F30054 1D52A96C
	v_mfma_f32_16x16x32_fp8_fp8 v[84:87], a[110:111], a[86:87], v[84:87]// 0000000044C8: D3F30054 1D52AD6E
	buffer_load_dword v61, s[20:23], 0 offen lds               // 0000000044D0: E0511000 8005003D
	s_add_u32 m0, 0x800, s49                                   // 0000000044D8: 807C31FF 00000800
	v_mfma_f32_16x16x32_fp8_fp8 v[88:91], a[104:105], a[88:89], v[88:91]// 0000000044E0: D3F30058 1D62B168
	v_mfma_f32_16x16x32_fp8_fp8 v[88:91], a[106:107], a[90:91], v[88:91]// 0000000044E8: D3F30058 1D62B56A
	buffer_load_dword v62, s[20:23], 0 offen lds               // 0000000044F0: E0511000 8005003E
	s_add_u32 m0, 0x900, s49                                   // 0000000044F8: 807C31FF 00000900
	v_mfma_f32_16x16x32_fp8_fp8 v[88:91], a[108:109], a[92:93], v[88:91]// 000000004500: D3F30058 1D62B96C
	v_mfma_f32_16x16x32_fp8_fp8 v[88:91], a[110:111], a[94:95], v[88:91]// 000000004508: D3F30058 1D62BD6E
	buffer_load_dword v63, s[20:23], 0 offen lds               // 000000004510: E0511000 8005003F
	s_add_u32 m0, 0xa00, s49                                   // 000000004518: 807C31FF 00000A00
	buffer_load_dword v64, s[20:23], 0 offen lds               // 000000004520: E0511000 80050040
	s_add_u32 m0, 0xb00, s49                                   // 000000004528: 807C31FF 00000B00
	buffer_load_dword v65, s[20:23], 0 offen lds               // 000000004530: E0511000 80050041
	s_add_u32 m0, 0, s50                                       // 000000004538: 807C3280
	s_waitcnt vmcnt(14)                                        // 00000000453C: BF8C0F7E
	s_barrier                                                  // 000000004540: BF8A0000
	v_mfma_f32_16x16x32_fp8_fp8 v[92:95], a[112:113], a[48:49], v[92:95]// 000000004544: D3F3005C 1D726170
	v_mfma_f32_16x16x32_fp8_fp8 v[92:95], a[114:115], a[50:51], v[92:95]// 00000000454C: D3F3005C 1D726572
	buffer_load_dwordx4 a[104:107], v66, s[84:87], 0 offen     // 000000004554: E05C1000 80956842
	v_mfma_f32_16x16x32_fp8_fp8 v[92:95], a[116:117], a[52:53], v[92:95]// 00000000455C: D3F3005C 1D726974
	v_mfma_f32_16x16x32_fp8_fp8 v[92:95], a[118:119], a[54:55], v[92:95]// 000000004564: D3F3005C 1D726D76
	ds_read_b128 a[0:3], v2                                    // 00000000456C: DBFE0000 00000002
	ds_read_b128 a[4:7], v2 offset:64                          // 000000004574: DBFE0040 04000002
	v_mfma_f32_16x16x32_fp8_fp8 v[96:99], a[112:113], a[56:57], v[96:99]// 00000000457C: D3F30060 1D827170
	v_mfma_f32_16x16x32_fp8_fp8 v[96:99], a[114:115], a[58:59], v[96:99]// 000000004584: D3F30060 1D827572
	buffer_load_dwordx4 a[108:111], v66, s[84:87], 0 offen offset:1024// 00000000458C: E05C1400 80956C42
	v_mfma_f32_16x16x32_fp8_fp8 v[96:99], a[116:117], a[60:61], v[96:99]// 000000004594: D3F30060 1D827974
	v_mfma_f32_16x16x32_fp8_fp8 v[96:99], a[118:119], a[62:63], v[96:99]// 00000000459C: D3F30060 1D827D76
	ds_read_b128 a[8:11], v2 offset:512                        // 0000000045A4: DBFE0200 08000002
	ds_read_b128 a[12:15], v2 offset:576                       // 0000000045AC: DBFE0240 0C000002
	v_mfma_f32_16x16x32_fp8_fp8 v[100:103], a[112:113], a[64:65], v[100:103]// 0000000045B4: D3F30064 1D928170
	v_mfma_f32_16x16x32_fp8_fp8 v[100:103], a[114:115], a[66:67], v[100:103]// 0000000045BC: D3F30064 1D928572
	v_mfma_f32_16x16x32_fp8_fp8 v[100:103], a[116:117], a[68:69], v[100:103]// 0000000045C4: D3F30064 1D928974
	v_mfma_f32_16x16x32_fp8_fp8 v[100:103], a[118:119], a[70:71], v[100:103]// 0000000045CC: D3F30064 1D928D76
	ds_read_b128 a[16:19], v2 offset:1024                      // 0000000045D4: DBFE0400 10000002
	ds_read_b128 a[20:23], v2 offset:1088                      // 0000000045DC: DBFE0440 14000002
	v_mfma_f32_16x16x32_fp8_fp8 v[104:107], a[112:113], a[72:73], v[104:107]// 0000000045E4: D3F30068 1DA29170
	v_mfma_f32_16x16x32_fp8_fp8 v[104:107], a[114:115], a[74:75], v[104:107]// 0000000045EC: D3F30068 1DA29572
	v_mfma_f32_16x16x32_fp8_fp8 v[104:107], a[116:117], a[76:77], v[104:107]// 0000000045F4: D3F30068 1DA29974
	v_mfma_f32_16x16x32_fp8_fp8 v[104:107], a[118:119], a[78:79], v[104:107]// 0000000045FC: D3F30068 1DA29D76
	ds_read_b128 a[24:27], v2 offset:1536                      // 000000004604: DBFE0600 18000002
	ds_read_b128 a[28:31], v2 offset:1600                      // 00000000460C: DBFE0640 1C000002
	v_mfma_f32_16x16x32_fp8_fp8 v[108:111], a[112:113], a[80:81], v[108:111]// 000000004614: D3F3006C 1DB2A170
	s_add_u32 s60, 0x180, s80                                  // 00000000461C: 803C50FF 00000180
	s_cmp_lt_u32 s60, s81                                      // 000000004624: BF0A513C
	s_cselect_b32 s57, s57, 0                                  // 000000004628: 85398039
	v_mfma_f32_16x16x32_fp8_fp8 v[108:111], a[114:115], a[82:83], v[108:111]// 00000000462C: D3F3006C 1DB2A572
	s_add_u32 s60, 0x100, s80                                  // 000000004634: 803C50FF 00000100
	s_cmp_lt_u32 s60, s81                                      // 00000000463C: BF0A513C
	s_cselect_b32 s58, s58, 0                                  // 000000004640: 853A803A
	v_mfma_f32_16x16x32_fp8_fp8 v[108:111], a[116:117], a[84:85], v[108:111]// 000000004644: D3F3006C 1DB2A974
	s_add_u32 s60, 0x100, s80                                  // 00000000464C: 803C50FF 00000100
	s_cmp_lt_u32 s60, s81                                      // 000000004654: BF0A513C
	s_cselect_b32 s83, s83, 0                                  // 000000004658: 85538053
	v_mfma_f32_16x16x32_fp8_fp8 v[108:111], a[118:119], a[86:87], v[108:111]// 00000000465C: D3F3006C 1DB2AD76
	ds_read_b128 a[32:35], v2 offset:2048                      // 000000004664: DBFE0800 20000002
	ds_read_b128 a[36:39], v2 offset:2112                      // 00000000466C: DBFE0840 24000002
	s_add_u32 s24, s58, s24                                    // 000000004674: 8018183A
	s_addc_u32 s25, 0, s25                                     // 000000004678: 82191980
	v_mfma_f32_16x16x32_fp8_fp8 v[112:115], a[112:113], a[88:89], v[112:115]// 00000000467C: D3F30070 1DC2B170
	s_add_u32 s20, s57, s20                                    // 000000004684: 80141439
	s_addc_u32 s21, 0, s21                                     // 000000004688: 82151580
	v_mfma_f32_16x16x32_fp8_fp8 v[112:115], a[114:115], a[90:91], v[112:115]// 00000000468C: D3F30070 1DC2B572
	s_add_u32 s84, s83, s84                                    // 000000004694: 80545453
	s_addc_u32 s85, 0, s85                                     // 000000004698: 82555580
	v_mfma_f32_16x16x32_fp8_fp8 v[112:115], a[116:117], a[92:93], v[112:115]// 00000000469C: D3F30070 1DC2B974
	v_mfma_f32_16x16x32_fp8_fp8 v[112:115], a[118:119], a[94:95], v[112:115]// 0000000046A4: D3F30070 1DC2BD76
	ds_read_b128 a[40:43], v2 offset:2560                      // 0000000046AC: DBFE0A00 28000002
	ds_read_b128 a[44:47], v2 offset:2624                      // 0000000046B4: DBFE0A40 2C000002
	s_addk_i32 s80, 0x80                                       // 0000000046BC: B7500080
	s_cmp_lt_i32 s80, s81                                      // 0000000046C0: BF045150
	s_cbranch_scc0 label_0773                                  // 0000000046C4: BF840001
	s_branch label_02C8                                        // 0000000046C8: BF82FB55

00000000000046cc <label_0773>:
	v_mul_f32_dpp v68, v24, v68 row_newbcast:0 row_mask:0xf bank_mask:0xf// 0000000046CC: 0A8888FA FF015018
	v_mul_f32_dpp v69, v24, v69 row_newbcast:1 row_mask:0xf bank_mask:0xf// 0000000046D4: 0A8A8AFA FF015118
	v_mul_f32_dpp v70, v24, v70 row_newbcast:2 row_mask:0xf bank_mask:0xf// 0000000046DC: 0A8C8CFA FF015218
	v_mul_f32_dpp v71, v24, v71 row_newbcast:3 row_mask:0xf bank_mask:0xf// 0000000046E4: 0A8E8EFA FF015318
	v_mul_f32_dpp v72, v24, v72 row_newbcast:0 row_mask:0xf bank_mask:0xf// 0000000046EC: 0A9090FA FF015018
	v_mul_f32_dpp v73, v24, v73 row_newbcast:1 row_mask:0xf bank_mask:0xf// 0000000046F4: 0A9292FA FF015118
	v_mul_f32_dpp v74, v24, v74 row_newbcast:2 row_mask:0xf bank_mask:0xf// 0000000046FC: 0A9494FA FF015218
	v_mul_f32_dpp v75, v24, v75 row_newbcast:3 row_mask:0xf bank_mask:0xf// 000000004704: 0A9696FA FF015318
	v_mul_f32_dpp v76, v24, v76 row_newbcast:0 row_mask:0xf bank_mask:0xf// 00000000470C: 0A9898FA FF015018
	v_mul_f32_dpp v77, v24, v77 row_newbcast:1 row_mask:0xf bank_mask:0xf// 000000004714: 0A9A9AFA FF015118
	v_mul_f32_dpp v78, v24, v78 row_newbcast:2 row_mask:0xf bank_mask:0xf// 00000000471C: 0A9C9CFA FF015218
	v_mul_f32_dpp v79, v24, v79 row_newbcast:3 row_mask:0xf bank_mask:0xf// 000000004724: 0A9E9EFA FF015318
	v_mul_f32_dpp v80, v24, v80 row_newbcast:0 row_mask:0xf bank_mask:0xf// 00000000472C: 0AA0A0FA FF015018
	v_mul_f32_dpp v81, v24, v81 row_newbcast:1 row_mask:0xf bank_mask:0xf// 000000004734: 0AA2A2FA FF015118
	v_mul_f32_dpp v82, v24, v82 row_newbcast:2 row_mask:0xf bank_mask:0xf// 00000000473C: 0AA4A4FA FF015218
	v_mul_f32_dpp v83, v24, v83 row_newbcast:3 row_mask:0xf bank_mask:0xf// 000000004744: 0AA6A6FA FF015318
	v_mul_f32_dpp v84, v24, v84 row_newbcast:0 row_mask:0xf bank_mask:0xf// 00000000474C: 0AA8A8FA FF015018
	v_mul_f32_dpp v85, v24, v85 row_newbcast:1 row_mask:0xf bank_mask:0xf// 000000004754: 0AAAAAFA FF015118
	v_mul_f32_dpp v86, v24, v86 row_newbcast:2 row_mask:0xf bank_mask:0xf// 00000000475C: 0AACACFA FF015218
	v_mul_f32_dpp v87, v24, v87 row_newbcast:3 row_mask:0xf bank_mask:0xf// 000000004764: 0AAEAEFA FF015318
	v_mul_f32_dpp v88, v24, v88 row_newbcast:0 row_mask:0xf bank_mask:0xf// 00000000476C: 0AB0B0FA FF015018
	v_mul_f32_dpp v89, v24, v89 row_newbcast:1 row_mask:0xf bank_mask:0xf// 000000004774: 0AB2B2FA FF015118
	v_mul_f32_dpp v90, v24, v90 row_newbcast:2 row_mask:0xf bank_mask:0xf// 00000000477C: 0AB4B4FA FF015218
	v_mul_f32_dpp v91, v24, v91 row_newbcast:3 row_mask:0xf bank_mask:0xf// 000000004784: 0AB6B6FA FF015318
	v_mul_f32_dpp v92, v27, v92 row_newbcast:0 row_mask:0xf bank_mask:0xf// 00000000478C: 0AB8B8FA FF01501B
	v_mul_f32_dpp v93, v27, v93 row_newbcast:1 row_mask:0xf bank_mask:0xf// 000000004794: 0ABABAFA FF01511B
	v_mul_f32_dpp v94, v27, v94 row_newbcast:2 row_mask:0xf bank_mask:0xf// 00000000479C: 0ABCBCFA FF01521B
	v_mul_f32_dpp v95, v27, v95 row_newbcast:3 row_mask:0xf bank_mask:0xf// 0000000047A4: 0ABEBEFA FF01531B
	v_mul_f32_dpp v96, v27, v96 row_newbcast:0 row_mask:0xf bank_mask:0xf// 0000000047AC: 0AC0C0FA FF01501B
	v_mul_f32_dpp v97, v27, v97 row_newbcast:1 row_mask:0xf bank_mask:0xf// 0000000047B4: 0AC2C2FA FF01511B
	v_mul_f32_dpp v98, v27, v98 row_newbcast:2 row_mask:0xf bank_mask:0xf// 0000000047BC: 0AC4C4FA FF01521B
	v_mul_f32_dpp v99, v27, v99 row_newbcast:3 row_mask:0xf bank_mask:0xf// 0000000047C4: 0AC6C6FA FF01531B
	v_mul_f32_dpp v100, v27, v100 row_newbcast:0 row_mask:0xf bank_mask:0xf// 0000000047CC: 0AC8C8FA FF01501B
	v_mul_f32_dpp v101, v27, v101 row_newbcast:1 row_mask:0xf bank_mask:0xf// 0000000047D4: 0ACACAFA FF01511B
	v_mul_f32_dpp v102, v27, v102 row_newbcast:2 row_mask:0xf bank_mask:0xf// 0000000047DC: 0ACCCCFA FF01521B
	v_mul_f32_dpp v103, v27, v103 row_newbcast:3 row_mask:0xf bank_mask:0xf// 0000000047E4: 0ACECEFA FF01531B
	v_mul_f32_dpp v104, v27, v104 row_newbcast:0 row_mask:0xf bank_mask:0xf// 0000000047EC: 0AD0D0FA FF01501B
	v_mul_f32_dpp v105, v27, v105 row_newbcast:1 row_mask:0xf bank_mask:0xf// 0000000047F4: 0AD2D2FA FF01511B
	v_mul_f32_dpp v106, v27, v106 row_newbcast:2 row_mask:0xf bank_mask:0xf// 0000000047FC: 0AD4D4FA FF01521B
	v_mul_f32_dpp v107, v27, v107 row_newbcast:3 row_mask:0xf bank_mask:0xf// 000000004804: 0AD6D6FA FF01531B
	v_mul_f32_dpp v108, v27, v108 row_newbcast:0 row_mask:0xf bank_mask:0xf// 00000000480C: 0AD8D8FA FF01501B
	v_mul_f32_dpp v109, v27, v109 row_newbcast:1 row_mask:0xf bank_mask:0xf// 000000004814: 0ADADAFA FF01511B
	v_mul_f32_dpp v110, v27, v110 row_newbcast:2 row_mask:0xf bank_mask:0xf// 00000000481C: 0ADCDCFA FF01521B
	v_mul_f32_dpp v111, v27, v111 row_newbcast:3 row_mask:0xf bank_mask:0xf// 000000004824: 0ADEDEFA FF01531B
	v_mul_f32_dpp v112, v27, v112 row_newbcast:0 row_mask:0xf bank_mask:0xf// 00000000482C: 0AE0E0FA FF01501B
	v_mul_f32_dpp v113, v27, v113 row_newbcast:1 row_mask:0xf bank_mask:0xf// 000000004834: 0AE2E2FA FF01511B
	v_mul_f32_dpp v114, v27, v114 row_newbcast:2 row_mask:0xf bank_mask:0xf// 00000000483C: 0AE4E4FA FF01521B
	v_mul_f32_dpp v115, v27, v115 row_newbcast:3 row_mask:0xf bank_mask:0xf// 000000004844: 0AE6E6FA FF01531B
	v_mov_b32_e32 v4, v36                                      // 00000000484C: 7E080324
	v_mov_b32_e32 v5, v4                                       // 000000004850: 7E0A0304
	v_pk_mul_f32 v[68:69], v[4:5], v[68:69]                    // 000000004854: D3B14044 18028904
	v_pk_mul_f32 v[92:93], v[4:5], v[92:93]                    // 00000000485C: D3B1405C 1802B904
	v_pk_mul_f32 v[70:71], v[4:5], v[70:71]                    // 000000004864: D3B14046 18028D04
	v_pk_mul_f32 v[94:95], v[4:5], v[94:95]                    // 00000000486C: D3B1405E 1802BD04
	v_mov_b32_e32 v4, v37                                      // 000000004874: 7E080325
	v_mov_b32_e32 v5, v4                                       // 000000004878: 7E0A0304
	v_pk_mul_f32 v[72:73], v[4:5], v[72:73]                    // 00000000487C: D3B14048 18029104
	v_pk_mul_f32 v[96:97], v[4:5], v[96:97]                    // 000000004884: D3B14060 1802C104
	v_pk_mul_f32 v[74:75], v[4:5], v[74:75]                    // 00000000488C: D3B1404A 18029504
	v_pk_mul_f32 v[98:99], v[4:5], v[98:99]                    // 000000004894: D3B14062 1802C504
	v_mov_b32_e32 v4, v38                                      // 00000000489C: 7E080326
	v_mov_b32_e32 v5, v4                                       // 0000000048A0: 7E0A0304
	v_pk_mul_f32 v[76:77], v[4:5], v[76:77]                    // 0000000048A4: D3B1404C 18029904
	v_pk_mul_f32 v[100:101], v[4:5], v[100:101]                // 0000000048AC: D3B14064 1802C904
	v_pk_mul_f32 v[78:79], v[4:5], v[78:79]                    // 0000000048B4: D3B1404E 18029D04
	v_pk_mul_f32 v[102:103], v[4:5], v[102:103]                // 0000000048BC: D3B14066 1802CD04
	v_mov_b32_e32 v4, v39                                      // 0000000048C4: 7E080327
	v_mov_b32_e32 v5, v4                                       // 0000000048C8: 7E0A0304
	v_pk_mul_f32 v[80:81], v[4:5], v[80:81]                    // 0000000048CC: D3B14050 1802A104
	v_pk_mul_f32 v[104:105], v[4:5], v[104:105]                // 0000000048D4: D3B14068 1802D104
	v_pk_mul_f32 v[82:83], v[4:5], v[82:83]                    // 0000000048DC: D3B14052 1802A504
	v_pk_mul_f32 v[106:107], v[4:5], v[106:107]                // 0000000048E4: D3B1406A 1802D504
	v_mov_b32_e32 v4, v40                                      // 0000000048EC: 7E080328
	v_mov_b32_e32 v5, v4                                       // 0000000048F0: 7E0A0304
	v_pk_mul_f32 v[84:85], v[4:5], v[84:85]                    // 0000000048F4: D3B14054 1802A904
	v_pk_mul_f32 v[108:109], v[4:5], v[108:109]                // 0000000048FC: D3B1406C 1802D904
	v_pk_mul_f32 v[86:87], v[4:5], v[86:87]                    // 000000004904: D3B14056 1802AD04
	v_pk_mul_f32 v[110:111], v[4:5], v[110:111]                // 00000000490C: D3B1406E 1802DD04
	v_mov_b32_e32 v4, v41                                      // 000000004914: 7E080329
	v_mov_b32_e32 v5, v4                                       // 000000004918: 7E0A0304
	v_pk_mul_f32 v[88:89], v[4:5], v[88:89]                    // 00000000491C: D3B14058 1802B104
	v_pk_mul_f32 v[112:113], v[4:5], v[112:113]                // 000000004924: D3B14070 1802E104
	v_pk_mul_f32 v[90:91], v[4:5], v[90:91]                    // 00000000492C: D3B1405A 1802B504
	v_pk_mul_f32 v[114:115], v[4:5], v[114:115]                // 000000004934: D3B14072 1802E504
	s_cmp_eq_u32 s88, 0                                        // 00000000493C: BF068058
	s_cbranch_scc0 label_0C8E                                  // 000000004940: BF84047D
	s_cmp_eq_u32 s89, 0                                        // 000000004944: BF068059
	s_cbranch_scc1 label_0908                                  // 000000004948: BF8500F5
	v_mov_b32_e32 v8, v1                                       // 00000000494C: 7E100301
	v_mov_b32_e32 v9, v1                                       // 000000004950: 7E120301
	s_mov_b32 s60, s6                                          // 000000004954: BEBC0006
	s_mov_b32 s61, s6                                          // 000000004958: BEBD0006
	v_pk_mul_f32 v[4:5], v[68:69], v[68:69]                    // 00000000495C: D3B14004 18028944
	v_pk_mul_f32 v[6:7], v[70:71], v[70:71]                    // 000000004964: D3B14006 18028D46
	v_pk_fma_f32 v[4:5], v[4:5], s[78:79], v[8:9]              // 00000000496C: D3B04004 1C209D04
	v_pk_fma_f32 v[6:7], v[6:7], s[78:79], v[8:9]              // 000000004974: D3B04006 1C209D06
	v_pk_mul_f32 v[4:5], v[4:5], v[68:69]                      // 00000000497C: D3B14004 18028904
	v_pk_mul_f32 v[6:7], v[6:7], v[70:71]                      // 000000004984: D3B14006 18028D06
	v_pk_mul_f32 v[4:5], v[4:5], s[60:61]                      // 00000000498C: D3B14004 18007904
	v_pk_mul_f32 v[6:7], v[6:7], s[60:61]                      // 000000004994: D3B14006 18007906
	v_exp_f32_e32 v4, v4                                       // 00000000499C: 7E084104
	v_exp_f32_e32 v5, v5                                       // 0000000049A0: 7E0A4105
	v_exp_f32_e32 v6, v6                                       // 0000000049A4: 7E0C4106
	v_exp_f32_e32 v7, v7                                       // 0000000049A8: 7E0E4107
	v_add_f32_e64 v4, v4, 1.0                                  // 0000000049AC: D1010004 0001E504
	v_add_f32_e64 v5, v5, 1.0                                  // 0000000049B4: D1010005 0001E505
	v_add_f32_e64 v6, v6, 1.0                                  // 0000000049BC: D1010006 0001E506
	v_add_f32_e64 v7, v7, 1.0                                  // 0000000049C4: D1010007 0001E507
	v_rcp_f32_e32 v4, v4                                       // 0000000049CC: 7E084504
	v_rcp_f32_e32 v5, v5                                       // 0000000049D0: 7E0A4505
	v_rcp_f32_e32 v6, v6                                       // 0000000049D4: 7E0C4506
	v_rcp_f32_e32 v7, v7                                       // 0000000049D8: 7E0E4507
	v_mul_f32_e32 v68, v68, v4                                 // 0000000049DC: 0A880944
	v_mul_f32_e32 v69, v69, v5                                 // 0000000049E0: 0A8A0B45
	v_mul_f32_e32 v70, v70, v6                                 // 0000000049E4: 0A8C0D46
	v_mul_f32_e32 v71, v71, v7                                 // 0000000049E8: 0A8E0F47
	v_mul_f32_e32 v68, v68, v92                                // 0000000049EC: 0A88B944
	v_mul_f32_e32 v69, v69, v93                                // 0000000049F0: 0A8ABB45
	v_mul_f32_e32 v70, v70, v94                                // 0000000049F4: 0A8CBD46
	v_mul_f32_e32 v71, v71, v95                                // 0000000049F8: 0A8EBF47
	v_pk_mul_f32 v[4:5], v[72:73], v[72:73]                    // 0000000049FC: D3B14004 18029148
	v_pk_mul_f32 v[6:7], v[74:75], v[74:75]                    // 000000004A04: D3B14006 1802954A
	v_pk_fma_f32 v[4:5], v[4:5], s[78:79], v[8:9]              // 000000004A0C: D3B04004 1C209D04
	v_pk_fma_f32 v[6:7], v[6:7], s[78:79], v[8:9]              // 000000004A14: D3B04006 1C209D06
	v_pk_mul_f32 v[4:5], v[4:5], v[72:73]                      // 000000004A1C: D3B14004 18029104
	v_pk_mul_f32 v[6:7], v[6:7], v[74:75]                      // 000000004A24: D3B14006 18029506
	v_pk_mul_f32 v[4:5], v[4:5], s[60:61]                      // 000000004A2C: D3B14004 18007904
	v_pk_mul_f32 v[6:7], v[6:7], s[60:61]                      // 000000004A34: D3B14006 18007906
	v_exp_f32_e32 v4, v4                                       // 000000004A3C: 7E084104
	v_exp_f32_e32 v5, v5                                       // 000000004A40: 7E0A4105
	v_exp_f32_e32 v6, v6                                       // 000000004A44: 7E0C4106
	v_exp_f32_e32 v7, v7                                       // 000000004A48: 7E0E4107
	v_add_f32_e64 v4, v4, 1.0                                  // 000000004A4C: D1010004 0001E504
	v_add_f32_e64 v5, v5, 1.0                                  // 000000004A54: D1010005 0001E505
	v_add_f32_e64 v6, v6, 1.0                                  // 000000004A5C: D1010006 0001E506
	v_add_f32_e64 v7, v7, 1.0                                  // 000000004A64: D1010007 0001E507
	v_rcp_f32_e32 v4, v4                                       // 000000004A6C: 7E084504
	v_rcp_f32_e32 v5, v5                                       // 000000004A70: 7E0A4505
	v_rcp_f32_e32 v6, v6                                       // 000000004A74: 7E0C4506
	v_rcp_f32_e32 v7, v7                                       // 000000004A78: 7E0E4507
	v_mul_f32_e32 v72, v72, v4                                 // 000000004A7C: 0A900948
	v_mul_f32_e32 v73, v73, v5                                 // 000000004A80: 0A920B49
	v_mul_f32_e32 v74, v74, v6                                 // 000000004A84: 0A940D4A
	v_mul_f32_e32 v75, v75, v7                                 // 000000004A88: 0A960F4B
	v_mul_f32_e32 v72, v72, v96                                // 000000004A8C: 0A90C148
	v_mul_f32_e32 v73, v73, v97                                // 000000004A90: 0A92C349
	v_mul_f32_e32 v74, v74, v98                                // 000000004A94: 0A94C54A
	v_mul_f32_e32 v75, v75, v99                                // 000000004A98: 0A96C74B
	v_pk_mul_f32 v[4:5], v[76:77], v[76:77]                    // 000000004A9C: D3B14004 1802994C
	v_pk_mul_f32 v[6:7], v[78:79], v[78:79]                    // 000000004AA4: D3B14006 18029D4E
	v_pk_fma_f32 v[4:5], v[4:5], s[78:79], v[8:9]              // 000000004AAC: D3B04004 1C209D04
	v_pk_fma_f32 v[6:7], v[6:7], s[78:79], v[8:9]              // 000000004AB4: D3B04006 1C209D06
	v_pk_mul_f32 v[4:5], v[4:5], v[76:77]                      // 000000004ABC: D3B14004 18029904
	v_pk_mul_f32 v[6:7], v[6:7], v[78:79]                      // 000000004AC4: D3B14006 18029D06
	v_pk_mul_f32 v[4:5], v[4:5], s[60:61]                      // 000000004ACC: D3B14004 18007904
	v_pk_mul_f32 v[6:7], v[6:7], s[60:61]                      // 000000004AD4: D3B14006 18007906
	v_exp_f32_e32 v4, v4                                       // 000000004ADC: 7E084104
	v_exp_f32_e32 v5, v5                                       // 000000004AE0: 7E0A4105
	v_exp_f32_e32 v6, v6                                       // 000000004AE4: 7E0C4106
	v_exp_f32_e32 v7, v7                                       // 000000004AE8: 7E0E4107
	v_add_f32_e64 v4, v4, 1.0                                  // 000000004AEC: D1010004 0001E504
	v_add_f32_e64 v5, v5, 1.0                                  // 000000004AF4: D1010005 0001E505
	v_add_f32_e64 v6, v6, 1.0                                  // 000000004AFC: D1010006 0001E506
	v_add_f32_e64 v7, v7, 1.0                                  // 000000004B04: D1010007 0001E507
	v_rcp_f32_e32 v4, v4                                       // 000000004B0C: 7E084504
	v_rcp_f32_e32 v5, v5                                       // 000000004B10: 7E0A4505
	v_rcp_f32_e32 v6, v6                                       // 000000004B14: 7E0C4506
	v_rcp_f32_e32 v7, v7                                       // 000000004B18: 7E0E4507
	v_mul_f32_e32 v76, v76, v4                                 // 000000004B1C: 0A98094C
	v_mul_f32_e32 v77, v77, v5                                 // 000000004B20: 0A9A0B4D
	v_mul_f32_e32 v78, v78, v6                                 // 000000004B24: 0A9C0D4E
	v_mul_f32_e32 v79, v79, v7                                 // 000000004B28: 0A9E0F4F
	v_mul_f32_e32 v76, v76, v100                               // 000000004B2C: 0A98C94C
	v_mul_f32_e32 v77, v77, v101                               // 000000004B30: 0A9ACB4D
	v_mul_f32_e32 v78, v78, v102                               // 000000004B34: 0A9CCD4E
	v_mul_f32_e32 v79, v79, v103                               // 000000004B38: 0A9ECF4F
	v_pk_mul_f32 v[4:5], v[80:81], v[80:81]                    // 000000004B3C: D3B14004 1802A150
	v_pk_mul_f32 v[6:7], v[82:83], v[82:83]                    // 000000004B44: D3B14006 1802A552
	v_pk_fma_f32 v[4:5], v[4:5], s[78:79], v[8:9]              // 000000004B4C: D3B04004 1C209D04
	v_pk_fma_f32 v[6:7], v[6:7], s[78:79], v[8:9]              // 000000004B54: D3B04006 1C209D06
	v_pk_mul_f32 v[4:5], v[4:5], v[80:81]                      // 000000004B5C: D3B14004 1802A104
	v_pk_mul_f32 v[6:7], v[6:7], v[82:83]                      // 000000004B64: D3B14006 1802A506
	v_pk_mul_f32 v[4:5], v[4:5], s[60:61]                      // 000000004B6C: D3B14004 18007904
	v_pk_mul_f32 v[6:7], v[6:7], s[60:61]                      // 000000004B74: D3B14006 18007906
	v_exp_f32_e32 v4, v4                                       // 000000004B7C: 7E084104
	v_exp_f32_e32 v5, v5                                       // 000000004B80: 7E0A4105
	v_exp_f32_e32 v6, v6                                       // 000000004B84: 7E0C4106
	v_exp_f32_e32 v7, v7                                       // 000000004B88: 7E0E4107
	v_add_f32_e64 v4, v4, 1.0                                  // 000000004B8C: D1010004 0001E504
	v_add_f32_e64 v5, v5, 1.0                                  // 000000004B94: D1010005 0001E505
	v_add_f32_e64 v6, v6, 1.0                                  // 000000004B9C: D1010006 0001E506
	v_add_f32_e64 v7, v7, 1.0                                  // 000000004BA4: D1010007 0001E507
	v_rcp_f32_e32 v4, v4                                       // 000000004BAC: 7E084504
	v_rcp_f32_e32 v5, v5                                       // 000000004BB0: 7E0A4505
	v_rcp_f32_e32 v6, v6                                       // 000000004BB4: 7E0C4506
	v_rcp_f32_e32 v7, v7                                       // 000000004BB8: 7E0E4507
	v_mul_f32_e32 v80, v80, v4                                 // 000000004BBC: 0AA00950
	v_mul_f32_e32 v81, v81, v5                                 // 000000004BC0: 0AA20B51
	v_mul_f32_e32 v82, v82, v6                                 // 000000004BC4: 0AA40D52
	v_mul_f32_e32 v83, v83, v7                                 // 000000004BC8: 0AA60F53
	v_mul_f32_e32 v80, v80, v104                               // 000000004BCC: 0AA0D150
	v_mul_f32_e32 v81, v81, v105                               // 000000004BD0: 0AA2D351
	v_mul_f32_e32 v82, v82, v106                               // 000000004BD4: 0AA4D552
	v_mul_f32_e32 v83, v83, v107                               // 000000004BD8: 0AA6D753
	v_pk_mul_f32 v[4:5], v[84:85], v[84:85]                    // 000000004BDC: D3B14004 1802A954
	v_pk_mul_f32 v[6:7], v[86:87], v[86:87]                    // 000000004BE4: D3B14006 1802AD56
	v_pk_fma_f32 v[4:5], v[4:5], s[78:79], v[8:9]              // 000000004BEC: D3B04004 1C209D04
	v_pk_fma_f32 v[6:7], v[6:7], s[78:79], v[8:9]              // 000000004BF4: D3B04006 1C209D06
	v_pk_mul_f32 v[4:5], v[4:5], v[84:85]                      // 000000004BFC: D3B14004 1802A904
	v_pk_mul_f32 v[6:7], v[6:7], v[86:87]                      // 000000004C04: D3B14006 1802AD06
	v_pk_mul_f32 v[4:5], v[4:5], s[60:61]                      // 000000004C0C: D3B14004 18007904
	v_pk_mul_f32 v[6:7], v[6:7], s[60:61]                      // 000000004C14: D3B14006 18007906
	v_exp_f32_e32 v4, v4                                       // 000000004C1C: 7E084104
	v_exp_f32_e32 v5, v5                                       // 000000004C20: 7E0A4105
	v_exp_f32_e32 v6, v6                                       // 000000004C24: 7E0C4106
	v_exp_f32_e32 v7, v7                                       // 000000004C28: 7E0E4107
	v_add_f32_e64 v4, v4, 1.0                                  // 000000004C2C: D1010004 0001E504
	v_add_f32_e64 v5, v5, 1.0                                  // 000000004C34: D1010005 0001E505
	v_add_f32_e64 v6, v6, 1.0                                  // 000000004C3C: D1010006 0001E506
	v_add_f32_e64 v7, v7, 1.0                                  // 000000004C44: D1010007 0001E507
	v_rcp_f32_e32 v4, v4                                       // 000000004C4C: 7E084504
	v_rcp_f32_e32 v5, v5                                       // 000000004C50: 7E0A4505
	v_rcp_f32_e32 v6, v6                                       // 000000004C54: 7E0C4506
	v_rcp_f32_e32 v7, v7                                       // 000000004C58: 7E0E4507
	v_mul_f32_e32 v84, v84, v4                                 // 000000004C5C: 0AA80954
	v_mul_f32_e32 v85, v85, v5                                 // 000000004C60: 0AAA0B55
	v_mul_f32_e32 v86, v86, v6                                 // 000000004C64: 0AAC0D56
	v_mul_f32_e32 v87, v87, v7                                 // 000000004C68: 0AAE0F57
	v_mul_f32_e32 v84, v84, v108                               // 000000004C6C: 0AA8D954
	v_mul_f32_e32 v85, v85, v109                               // 000000004C70: 0AAADB55
	v_mul_f32_e32 v86, v86, v110                               // 000000004C74: 0AACDD56
	v_mul_f32_e32 v87, v87, v111                               // 000000004C78: 0AAEDF57
	v_pk_mul_f32 v[4:5], v[88:89], v[88:89]                    // 000000004C7C: D3B14004 1802B158
	v_pk_mul_f32 v[6:7], v[90:91], v[90:91]                    // 000000004C84: D3B14006 1802B55A
	v_pk_fma_f32 v[4:5], v[4:5], s[78:79], v[8:9]              // 000000004C8C: D3B04004 1C209D04
	v_pk_fma_f32 v[6:7], v[6:7], s[78:79], v[8:9]              // 000000004C94: D3B04006 1C209D06
	v_pk_mul_f32 v[4:5], v[4:5], v[88:89]                      // 000000004C9C: D3B14004 1802B104
	v_pk_mul_f32 v[6:7], v[6:7], v[90:91]                      // 000000004CA4: D3B14006 1802B506
	v_pk_mul_f32 v[4:5], v[4:5], s[60:61]                      // 000000004CAC: D3B14004 18007904
	v_pk_mul_f32 v[6:7], v[6:7], s[60:61]                      // 000000004CB4: D3B14006 18007906
	v_exp_f32_e32 v4, v4                                       // 000000004CBC: 7E084104
	v_exp_f32_e32 v5, v5                                       // 000000004CC0: 7E0A4105
	v_exp_f32_e32 v6, v6                                       // 000000004CC4: 7E0C4106
	v_exp_f32_e32 v7, v7                                       // 000000004CC8: 7E0E4107
	v_add_f32_e64 v4, v4, 1.0                                  // 000000004CCC: D1010004 0001E504
	v_add_f32_e64 v5, v5, 1.0                                  // 000000004CD4: D1010005 0001E505
	v_add_f32_e64 v6, v6, 1.0                                  // 000000004CDC: D1010006 0001E506
	v_add_f32_e64 v7, v7, 1.0                                  // 000000004CE4: D1010007 0001E507
	v_rcp_f32_e32 v4, v4                                       // 000000004CEC: 7E084504
	v_rcp_f32_e32 v5, v5                                       // 000000004CF0: 7E0A4505
	v_rcp_f32_e32 v6, v6                                       // 000000004CF4: 7E0C4506
	v_rcp_f32_e32 v7, v7                                       // 000000004CF8: 7E0E4507
	v_mul_f32_e32 v88, v88, v4                                 // 000000004CFC: 0AB00958
	v_mul_f32_e32 v89, v89, v5                                 // 000000004D00: 0AB20B59
	v_mul_f32_e32 v90, v90, v6                                 // 000000004D04: 0AB40D5A
	v_mul_f32_e32 v91, v91, v7                                 // 000000004D08: 0AB60F5B
	v_mul_f32_e32 v88, v88, v112                               // 000000004D0C: 0AB0E158
	v_mul_f32_e32 v89, v89, v113                               // 000000004D10: 0AB2E359
	v_mul_f32_e32 v90, v90, v114                               // 000000004D14: 0AB4E55A
	v_mul_f32_e32 v91, v91, v115                               // 000000004D18: 0AB6E75B
	s_branch label_09C8                                        // 000000004D1C: BF8200C0

0000000000004d20 <label_0908>:
	v_mul_f32_e64 v4, -v68, s6                                 // 000000004D20: D1050004 20000D44
	v_mul_f32_e64 v5, -v69, s6                                 // 000000004D28: D1050005 20000D45
	v_mul_f32_e64 v6, -v70, s6                                 // 000000004D30: D1050006 20000D46
	v_mul_f32_e64 v7, -v71, s6                                 // 000000004D38: D1050007 20000D47
	v_exp_f32_e32 v4, v4                                       // 000000004D40: 7E084104
	v_exp_f32_e32 v5, v5                                       // 000000004D44: 7E0A4105
	v_exp_f32_e32 v6, v6                                       // 000000004D48: 7E0C4106
	v_exp_f32_e32 v7, v7                                       // 000000004D4C: 7E0E4107
	v_add_f32_e64 v4, v4, 1.0                                  // 000000004D50: D1010004 0001E504
	v_add_f32_e64 v5, v5, 1.0                                  // 000000004D58: D1010005 0001E505
	v_add_f32_e64 v6, v6, 1.0                                  // 000000004D60: D1010006 0001E506
	v_add_f32_e64 v7, v7, 1.0                                  // 000000004D68: D1010007 0001E507
	v_rcp_f32_e32 v4, v4                                       // 000000004D70: 7E084504
	v_rcp_f32_e32 v5, v5                                       // 000000004D74: 7E0A4505
	v_rcp_f32_e32 v6, v6                                       // 000000004D78: 7E0C4506
	v_rcp_f32_e32 v7, v7                                       // 000000004D7C: 7E0E4507
	v_mul_f32_e32 v68, v68, v4                                 // 000000004D80: 0A880944
	v_mul_f32_e32 v69, v69, v5                                 // 000000004D84: 0A8A0B45
	v_mul_f32_e32 v70, v70, v6                                 // 000000004D88: 0A8C0D46
	v_mul_f32_e32 v71, v71, v7                                 // 000000004D8C: 0A8E0F47
	v_mul_f32_e32 v68, v68, v92                                // 000000004D90: 0A88B944
	v_mul_f32_e32 v69, v69, v93                                // 000000004D94: 0A8ABB45
	v_mul_f32_e32 v70, v70, v94                                // 000000004D98: 0A8CBD46
	v_mul_f32_e32 v71, v71, v95                                // 000000004D9C: 0A8EBF47
	v_mul_f32_e64 v4, -v72, s6                                 // 000000004DA0: D1050004 20000D48
	v_mul_f32_e64 v5, -v73, s6                                 // 000000004DA8: D1050005 20000D49
	v_mul_f32_e64 v6, -v74, s6                                 // 000000004DB0: D1050006 20000D4A
	v_mul_f32_e64 v7, -v75, s6                                 // 000000004DB8: D1050007 20000D4B
	v_exp_f32_e32 v4, v4                                       // 000000004DC0: 7E084104
	v_exp_f32_e32 v5, v5                                       // 000000004DC4: 7E0A4105
	v_exp_f32_e32 v6, v6                                       // 000000004DC8: 7E0C4106
	v_exp_f32_e32 v7, v7                                       // 000000004DCC: 7E0E4107
	v_add_f32_e64 v4, v4, 1.0                                  // 000000004DD0: D1010004 0001E504
	v_add_f32_e64 v5, v5, 1.0                                  // 000000004DD8: D1010005 0001E505
	v_add_f32_e64 v6, v6, 1.0                                  // 000000004DE0: D1010006 0001E506
	v_add_f32_e64 v7, v7, 1.0                                  // 000000004DE8: D1010007 0001E507
	v_rcp_f32_e32 v4, v4                                       // 000000004DF0: 7E084504
	v_rcp_f32_e32 v5, v5                                       // 000000004DF4: 7E0A4505
	v_rcp_f32_e32 v6, v6                                       // 000000004DF8: 7E0C4506
	v_rcp_f32_e32 v7, v7                                       // 000000004DFC: 7E0E4507
	v_mul_f32_e32 v72, v72, v4                                 // 000000004E00: 0A900948
	v_mul_f32_e32 v73, v73, v5                                 // 000000004E04: 0A920B49
	v_mul_f32_e32 v74, v74, v6                                 // 000000004E08: 0A940D4A
	v_mul_f32_e32 v75, v75, v7                                 // 000000004E0C: 0A960F4B
	v_mul_f32_e32 v72, v72, v96                                // 000000004E10: 0A90C148
	v_mul_f32_e32 v73, v73, v97                                // 000000004E14: 0A92C349
	v_mul_f32_e32 v74, v74, v98                                // 000000004E18: 0A94C54A
	v_mul_f32_e32 v75, v75, v99                                // 000000004E1C: 0A96C74B
	v_mul_f32_e64 v4, -v76, s6                                 // 000000004E20: D1050004 20000D4C
	v_mul_f32_e64 v5, -v77, s6                                 // 000000004E28: D1050005 20000D4D
	v_mul_f32_e64 v6, -v78, s6                                 // 000000004E30: D1050006 20000D4E
	v_mul_f32_e64 v7, -v79, s6                                 // 000000004E38: D1050007 20000D4F
	v_exp_f32_e32 v4, v4                                       // 000000004E40: 7E084104
	v_exp_f32_e32 v5, v5                                       // 000000004E44: 7E0A4105
	v_exp_f32_e32 v6, v6                                       // 000000004E48: 7E0C4106
	v_exp_f32_e32 v7, v7                                       // 000000004E4C: 7E0E4107
	v_add_f32_e64 v4, v4, 1.0                                  // 000000004E50: D1010004 0001E504
	v_add_f32_e64 v5, v5, 1.0                                  // 000000004E58: D1010005 0001E505
	v_add_f32_e64 v6, v6, 1.0                                  // 000000004E60: D1010006 0001E506
	v_add_f32_e64 v7, v7, 1.0                                  // 000000004E68: D1010007 0001E507
	v_rcp_f32_e32 v4, v4                                       // 000000004E70: 7E084504
	v_rcp_f32_e32 v5, v5                                       // 000000004E74: 7E0A4505
	v_rcp_f32_e32 v6, v6                                       // 000000004E78: 7E0C4506
	v_rcp_f32_e32 v7, v7                                       // 000000004E7C: 7E0E4507
	v_mul_f32_e32 v76, v76, v4                                 // 000000004E80: 0A98094C
	v_mul_f32_e32 v77, v77, v5                                 // 000000004E84: 0A9A0B4D
	v_mul_f32_e32 v78, v78, v6                                 // 000000004E88: 0A9C0D4E
	v_mul_f32_e32 v79, v79, v7                                 // 000000004E8C: 0A9E0F4F
	v_mul_f32_e32 v76, v76, v100                               // 000000004E90: 0A98C94C
	v_mul_f32_e32 v77, v77, v101                               // 000000004E94: 0A9ACB4D
	v_mul_f32_e32 v78, v78, v102                               // 000000004E98: 0A9CCD4E
	v_mul_f32_e32 v79, v79, v103                               // 000000004E9C: 0A9ECF4F
	v_mul_f32_e64 v4, -v80, s6                                 // 000000004EA0: D1050004 20000D50
	v_mul_f32_e64 v5, -v81, s6                                 // 000000004EA8: D1050005 20000D51
	v_mul_f32_e64 v6, -v82, s6                                 // 000000004EB0: D1050006 20000D52
	v_mul_f32_e64 v7, -v83, s6                                 // 000000004EB8: D1050007 20000D53
	v_exp_f32_e32 v4, v4                                       // 000000004EC0: 7E084104
	v_exp_f32_e32 v5, v5                                       // 000000004EC4: 7E0A4105
	v_exp_f32_e32 v6, v6                                       // 000000004EC8: 7E0C4106
	v_exp_f32_e32 v7, v7                                       // 000000004ECC: 7E0E4107
	v_add_f32_e64 v4, v4, 1.0                                  // 000000004ED0: D1010004 0001E504
	v_add_f32_e64 v5, v5, 1.0                                  // 000000004ED8: D1010005 0001E505
	v_add_f32_e64 v6, v6, 1.0                                  // 000000004EE0: D1010006 0001E506
	v_add_f32_e64 v7, v7, 1.0                                  // 000000004EE8: D1010007 0001E507
	v_rcp_f32_e32 v4, v4                                       // 000000004EF0: 7E084504
	v_rcp_f32_e32 v5, v5                                       // 000000004EF4: 7E0A4505
	v_rcp_f32_e32 v6, v6                                       // 000000004EF8: 7E0C4506
	v_rcp_f32_e32 v7, v7                                       // 000000004EFC: 7E0E4507
	v_mul_f32_e32 v80, v80, v4                                 // 000000004F00: 0AA00950
	v_mul_f32_e32 v81, v81, v5                                 // 000000004F04: 0AA20B51
	v_mul_f32_e32 v82, v82, v6                                 // 000000004F08: 0AA40D52
	v_mul_f32_e32 v83, v83, v7                                 // 000000004F0C: 0AA60F53
	v_mul_f32_e32 v80, v80, v104                               // 000000004F10: 0AA0D150
	v_mul_f32_e32 v81, v81, v105                               // 000000004F14: 0AA2D351
	v_mul_f32_e32 v82, v82, v106                               // 000000004F18: 0AA4D552
	v_mul_f32_e32 v83, v83, v107                               // 000000004F1C: 0AA6D753
	v_mul_f32_e64 v4, -v84, s6                                 // 000000004F20: D1050004 20000D54
	v_mul_f32_e64 v5, -v85, s6                                 // 000000004F28: D1050005 20000D55
	v_mul_f32_e64 v6, -v86, s6                                 // 000000004F30: D1050006 20000D56
	v_mul_f32_e64 v7, -v87, s6                                 // 000000004F38: D1050007 20000D57
	v_exp_f32_e32 v4, v4                                       // 000000004F40: 7E084104
	v_exp_f32_e32 v5, v5                                       // 000000004F44: 7E0A4105
	v_exp_f32_e32 v6, v6                                       // 000000004F48: 7E0C4106
	v_exp_f32_e32 v7, v7                                       // 000000004F4C: 7E0E4107
	v_add_f32_e64 v4, v4, 1.0                                  // 000000004F50: D1010004 0001E504
	v_add_f32_e64 v5, v5, 1.0                                  // 000000004F58: D1010005 0001E505
	v_add_f32_e64 v6, v6, 1.0                                  // 000000004F60: D1010006 0001E506
	v_add_f32_e64 v7, v7, 1.0                                  // 000000004F68: D1010007 0001E507
	v_rcp_f32_e32 v4, v4                                       // 000000004F70: 7E084504
	v_rcp_f32_e32 v5, v5                                       // 000000004F74: 7E0A4505
	v_rcp_f32_e32 v6, v6                                       // 000000004F78: 7E0C4506
	v_rcp_f32_e32 v7, v7                                       // 000000004F7C: 7E0E4507
	v_mul_f32_e32 v84, v84, v4                                 // 000000004F80: 0AA80954
	v_mul_f32_e32 v85, v85, v5                                 // 000000004F84: 0AAA0B55
	v_mul_f32_e32 v86, v86, v6                                 // 000000004F88: 0AAC0D56
	v_mul_f32_e32 v87, v87, v7                                 // 000000004F8C: 0AAE0F57
	v_mul_f32_e32 v84, v84, v108                               // 000000004F90: 0AA8D954
	v_mul_f32_e32 v85, v85, v109                               // 000000004F94: 0AAADB55
	v_mul_f32_e32 v86, v86, v110                               // 000000004F98: 0AACDD56
	v_mul_f32_e32 v87, v87, v111                               // 000000004F9C: 0AAEDF57
	v_mul_f32_e64 v4, -v88, s6                                 // 000000004FA0: D1050004 20000D58
	v_mul_f32_e64 v5, -v89, s6                                 // 000000004FA8: D1050005 20000D59
	v_mul_f32_e64 v6, -v90, s6                                 // 000000004FB0: D1050006 20000D5A
	v_mul_f32_e64 v7, -v91, s6                                 // 000000004FB8: D1050007 20000D5B
	v_exp_f32_e32 v4, v4                                       // 000000004FC0: 7E084104
	v_exp_f32_e32 v5, v5                                       // 000000004FC4: 7E0A4105
	v_exp_f32_e32 v6, v6                                       // 000000004FC8: 7E0C4106
	v_exp_f32_e32 v7, v7                                       // 000000004FCC: 7E0E4107
	v_add_f32_e64 v4, v4, 1.0                                  // 000000004FD0: D1010004 0001E504
	v_add_f32_e64 v5, v5, 1.0                                  // 000000004FD8: D1010005 0001E505
	v_add_f32_e64 v6, v6, 1.0                                  // 000000004FE0: D1010006 0001E506
	v_add_f32_e64 v7, v7, 1.0                                  // 000000004FE8: D1010007 0001E507
	v_rcp_f32_e32 v4, v4                                       // 000000004FF0: 7E084504
	v_rcp_f32_e32 v5, v5                                       // 000000004FF4: 7E0A4505
	v_rcp_f32_e32 v6, v6                                       // 000000004FF8: 7E0C4506
	v_rcp_f32_e32 v7, v7                                       // 000000004FFC: 7E0E4507
	v_mul_f32_e32 v88, v88, v4                                 // 000000005000: 0AB00958
	v_mul_f32_e32 v89, v89, v5                                 // 000000005004: 0AB20B59
	v_mul_f32_e32 v90, v90, v6                                 // 000000005008: 0AB40D5A
	v_mul_f32_e32 v91, v91, v7                                 // 00000000500C: 0AB60F5B
	v_mul_f32_e32 v88, v88, v112                               // 000000005010: 0AB0E158
	v_mul_f32_e32 v89, v89, v113                               // 000000005014: 0AB2E359
	v_mul_f32_e32 v90, v90, v114                               // 000000005018: 0AB4E55A
	v_mul_f32_e32 v91, v91, v115                               // 00000000501C: 0AB6E75B

0000000000005020 <label_09C8>:
	v_cmp_u_f32_e64 s[46:47], v68, v68                         // 000000005020: D048002E 00028944
	v_add3_u32 v16, v68, v19, 1                                // 000000005028: D1FF0010 02062744
	v_cndmask_b32_e64 v4, v16, v18, s[46:47]                   // 000000005030: D1000004 00BA2510
	v_cmp_u_f32_e64 s[46:47], v69, v69                         // 000000005038: D048002E 00028B45
	v_add3_u32 v16, v69, v19, 1                                // 000000005040: D1FF0010 02062745
	v_cndmask_b32_e64 v5, v16, v18, s[46:47]                   // 000000005048: D1000005 00BA2510
	v_perm_b32 v68, v5, v4, s52                                // 000000005050: D1ED0044 00D20905
	v_cmp_u_f32_e64 s[46:47], v70, v70                         // 000000005058: D048002E 00028D46
	v_add3_u32 v16, v70, v19, 1                                // 000000005060: D1FF0010 02062746
	v_cndmask_b32_e64 v4, v16, v18, s[46:47]                   // 000000005068: D1000004 00BA2510
	v_cmp_u_f32_e64 s[46:47], v71, v71                         // 000000005070: D048002E 00028F47
	v_add3_u32 v16, v71, v19, 1                                // 000000005078: D1FF0010 02062747
	v_cndmask_b32_e64 v5, v16, v18, s[46:47]                   // 000000005080: D1000005 00BA2510
	v_perm_b32 v69, v5, v4, s52                                // 000000005088: D1ED0045 00D20905
	v_cmp_u_f32_e64 s[46:47], v72, v72                         // 000000005090: D048002E 00029148
	v_add3_u32 v16, v72, v19, 1                                // 000000005098: D1FF0010 02062748
	v_cndmask_b32_e64 v4, v16, v18, s[46:47]                   // 0000000050A0: D1000004 00BA2510
	v_cmp_u_f32_e64 s[46:47], v73, v73                         // 0000000050A8: D048002E 00029349
	v_add3_u32 v16, v73, v19, 1                                // 0000000050B0: D1FF0010 02062749
	v_cndmask_b32_e64 v5, v16, v18, s[46:47]                   // 0000000050B8: D1000005 00BA2510
	v_perm_b32 v70, v5, v4, s52                                // 0000000050C0: D1ED0046 00D20905
	v_cmp_u_f32_e64 s[46:47], v74, v74                         // 0000000050C8: D048002E 0002954A
	v_add3_u32 v16, v74, v19, 1                                // 0000000050D0: D1FF0010 0206274A
	v_cndmask_b32_e64 v4, v16, v18, s[46:47]                   // 0000000050D8: D1000004 00BA2510
	v_cmp_u_f32_e64 s[46:47], v75, v75                         // 0000000050E0: D048002E 0002974B
	v_add3_u32 v16, v75, v19, 1                                // 0000000050E8: D1FF0010 0206274B
	v_cndmask_b32_e64 v5, v16, v18, s[46:47]                   // 0000000050F0: D1000005 00BA2510
	v_perm_b32 v71, v5, v4, s52                                // 0000000050F8: D1ED0047 00D20905
	v_cmp_u_f32_e64 s[46:47], v76, v76                         // 000000005100: D048002E 0002994C
	v_add3_u32 v16, v76, v19, 1                                // 000000005108: D1FF0010 0206274C
	v_cndmask_b32_e64 v4, v16, v18, s[46:47]                   // 000000005110: D1000004 00BA2510
	v_cmp_u_f32_e64 s[46:47], v77, v77                         // 000000005118: D048002E 00029B4D
	v_add3_u32 v16, v77, v19, 1                                // 000000005120: D1FF0010 0206274D
	v_cndmask_b32_e64 v5, v16, v18, s[46:47]                   // 000000005128: D1000005 00BA2510
	v_perm_b32 v72, v5, v4, s52                                // 000000005130: D1ED0048 00D20905
	v_cmp_u_f32_e64 s[46:47], v78, v78                         // 000000005138: D048002E 00029D4E
	v_add3_u32 v16, v78, v19, 1                                // 000000005140: D1FF0010 0206274E
	v_cndmask_b32_e64 v4, v16, v18, s[46:47]                   // 000000005148: D1000004 00BA2510
	v_cmp_u_f32_e64 s[46:47], v79, v79                         // 000000005150: D048002E 00029F4F
	v_add3_u32 v16, v79, v19, 1                                // 000000005158: D1FF0010 0206274F
	v_cndmask_b32_e64 v5, v16, v18, s[46:47]                   // 000000005160: D1000005 00BA2510
	v_perm_b32 v73, v5, v4, s52                                // 000000005168: D1ED0049 00D20905
	v_cmp_u_f32_e64 s[46:47], v80, v80                         // 000000005170: D048002E 0002A150
	v_add3_u32 v16, v80, v19, 1                                // 000000005178: D1FF0010 02062750
	v_cndmask_b32_e64 v4, v16, v18, s[46:47]                   // 000000005180: D1000004 00BA2510
	v_cmp_u_f32_e64 s[46:47], v81, v81                         // 000000005188: D048002E 0002A351
	v_add3_u32 v16, v81, v19, 1                                // 000000005190: D1FF0010 02062751
	v_cndmask_b32_e64 v5, v16, v18, s[46:47]                   // 000000005198: D1000005 00BA2510
	v_perm_b32 v74, v5, v4, s52                                // 0000000051A0: D1ED004A 00D20905
	v_cmp_u_f32_e64 s[46:47], v82, v82                         // 0000000051A8: D048002E 0002A552
	v_add3_u32 v16, v82, v19, 1                                // 0000000051B0: D1FF0010 02062752
	v_cndmask_b32_e64 v4, v16, v18, s[46:47]                   // 0000000051B8: D1000004 00BA2510
	v_cmp_u_f32_e64 s[46:47], v83, v83                         // 0000000051C0: D048002E 0002A753
	v_add3_u32 v16, v83, v19, 1                                // 0000000051C8: D1FF0010 02062753
	v_cndmask_b32_e64 v5, v16, v18, s[46:47]                   // 0000000051D0: D1000005 00BA2510
	v_perm_b32 v75, v5, v4, s52                                // 0000000051D8: D1ED004B 00D20905
	v_cmp_u_f32_e64 s[46:47], v84, v84                         // 0000000051E0: D048002E 0002A954
	v_add3_u32 v16, v84, v19, 1                                // 0000000051E8: D1FF0010 02062754
	v_cndmask_b32_e64 v4, v16, v18, s[46:47]                   // 0000000051F0: D1000004 00BA2510
	v_cmp_u_f32_e64 s[46:47], v85, v85                         // 0000000051F8: D048002E 0002AB55
	v_add3_u32 v16, v85, v19, 1                                // 000000005200: D1FF0010 02062755
	v_cndmask_b32_e64 v5, v16, v18, s[46:47]                   // 000000005208: D1000005 00BA2510
	v_perm_b32 v76, v5, v4, s52                                // 000000005210: D1ED004C 00D20905
	v_cmp_u_f32_e64 s[46:47], v86, v86                         // 000000005218: D048002E 0002AD56
	v_add3_u32 v16, v86, v19, 1                                // 000000005220: D1FF0010 02062756
	v_cndmask_b32_e64 v4, v16, v18, s[46:47]                   // 000000005228: D1000004 00BA2510
	v_cmp_u_f32_e64 s[46:47], v87, v87                         // 000000005230: D048002E 0002AF57
	v_add3_u32 v16, v87, v19, 1                                // 000000005238: D1FF0010 02062757
	v_cndmask_b32_e64 v5, v16, v18, s[46:47]                   // 000000005240: D1000005 00BA2510
	v_perm_b32 v77, v5, v4, s52                                // 000000005248: D1ED004D 00D20905
	v_cmp_u_f32_e64 s[46:47], v88, v88                         // 000000005250: D048002E 0002B158
	v_add3_u32 v16, v88, v19, 1                                // 000000005258: D1FF0010 02062758
	v_cndmask_b32_e64 v4, v16, v18, s[46:47]                   // 000000005260: D1000004 00BA2510
	v_cmp_u_f32_e64 s[46:47], v89, v89                         // 000000005268: D048002E 0002B359
	v_add3_u32 v16, v89, v19, 1                                // 000000005270: D1FF0010 02062759
	v_cndmask_b32_e64 v5, v16, v18, s[46:47]                   // 000000005278: D1000005 00BA2510
	v_perm_b32 v78, v5, v4, s52                                // 000000005280: D1ED004E 00D20905
	v_cmp_u_f32_e64 s[46:47], v90, v90                         // 000000005288: D048002E 0002B55A
	v_add3_u32 v16, v90, v19, 1                                // 000000005290: D1FF0010 0206275A
	v_cndmask_b32_e64 v4, v16, v18, s[46:47]                   // 000000005298: D1000004 00BA2510
	v_cmp_u_f32_e64 s[46:47], v91, v91                         // 0000000052A0: D048002E 0002B75B
	v_add3_u32 v16, v91, v19, 1                                // 0000000052A8: D1FF0010 0206275B
	v_cndmask_b32_e64 v5, v16, v18, s[46:47]                   // 0000000052B0: D1000005 00BA2510
	v_perm_b32 v79, v5, v4, s52                                // 0000000052B8: D1ED004F 00D20905
	ds_write_b64 v20, v[68:69]                                 // 0000000052C0: D89A0000 00004414
	ds_write_b64 v20, v[70:71] offset:2176                     // 0000000052C8: D89A0880 00004614
	ds_write_b64 v20, v[72:73] offset:4352                     // 0000000052D0: D89A1100 00004814
	ds_write_b64 v20, v[74:75] offset:6528                     // 0000000052D8: D89A1980 00004A14
	ds_write_b64 v20, v[76:77] offset:8704                     // 0000000052E0: D89A2200 00004C14
	ds_write_b64 v20, v[78:79] offset:10880                    // 0000000052E8: D89A2A80 00004E14
	v_lshrrev_b32_e32 v4, 5, v0                                // 0000000052F0: 20080085
	v_xor_b32_e32 v5, 1, v4                                    // 0000000052F4: 2A0A0881
	s_mul_i32 s60, s65, 2                                      // 0000000052F8: 923C8241
	s_cmp_eq_u32 s88, 0                                        // 0000000052FC: BF068058
	s_cselect_b32 s61, 1, 4                                    // 000000005300: 853D8481
	s_mul_i32 s60, s61, s60                                    // 000000005304: 923C3C3D
	v_readlane_b32 s82, v3, 0                                  // 000000005308: D2890052 00010103
	s_lshr_b32 s61, s82, 24                                    // 000000005310: 8F3D9852
	s_and_b32 s82, s82, 0xffffff                               // 000000005314: 8652FF52 00FFFFFF
	s_mul_i32 s82, s82, s71                                    // 00000000531C: 92524752
	s_mul_i32 s61, s60, s61                                    // 000000005320: 923D3D3C
	s_add_u32 s82, s82, s61                                    // 000000005324: 80523D52
	v_mul_lo_u32 v6, v5, s82                                   // 000000005328: D2850006 0000A505
	v_readlane_b32 s82, v3, 1                                  // 000000005330: D2890052 00010303
	s_lshr_b32 s61, s82, 24                                    // 000000005338: 8F3D9852
	s_and_b32 s82, s82, 0xffffff                               // 00000000533C: 8652FF52 00FFFFFF
	s_mul_i32 s82, s82, s71                                    // 000000005344: 92524752
	s_mul_i32 s61, s60, s61                                    // 000000005348: 923D3D3C
	s_add_u32 s82, s82, s61                                    // 00000000534C: 80523D52
	v_mul_lo_u32 v7, v4, s82                                   // 000000005350: D2850007 0000A504
	v_add_u32_e32 v54, v6, v7                                  // 000000005358: 686C0F06
	v_readlane_b32 s82, v3, 2                                  // 00000000535C: D2890052 00010503
	s_lshr_b32 s61, s82, 24                                    // 000000005364: 8F3D9852
	s_and_b32 s82, s82, 0xffffff                               // 000000005368: 8652FF52 00FFFFFF
	s_mul_i32 s82, s82, s71                                    // 000000005370: 92524752
	s_mul_i32 s61, s60, s61                                    // 000000005374: 923D3D3C
	s_add_u32 s82, s82, s61                                    // 000000005378: 80523D52
	v_mul_lo_u32 v6, v5, s82                                   // 00000000537C: D2850006 0000A505
	v_readlane_b32 s82, v3, 3                                  // 000000005384: D2890052 00010703
	s_lshr_b32 s61, s82, 24                                    // 00000000538C: 8F3D9852
	s_and_b32 s82, s82, 0xffffff                               // 000000005390: 8652FF52 00FFFFFF
	s_mul_i32 s82, s82, s71                                    // 000000005398: 92524752
	s_mul_i32 s61, s60, s61                                    // 00000000539C: 923D3D3C
	s_add_u32 s82, s82, s61                                    // 0000000053A0: 80523D52
	v_mul_lo_u32 v7, v4, s82                                   // 0000000053A4: D2850007 0000A504
	v_add_u32_e32 v55, v6, v7                                  // 0000000053AC: 686E0F06
	v_readlane_b32 s82, v3, 4                                  // 0000000053B0: D2890052 00010903
	s_lshr_b32 s61, s82, 24                                    // 0000000053B8: 8F3D9852
	s_and_b32 s82, s82, 0xffffff                               // 0000000053BC: 8652FF52 00FFFFFF
	s_mul_i32 s82, s82, s71                                    // 0000000053C4: 92524752
	s_mul_i32 s61, s60, s61                                    // 0000000053C8: 923D3D3C
	s_add_u32 s82, s82, s61                                    // 0000000053CC: 80523D52
	v_mul_lo_u32 v6, v5, s82                                   // 0000000053D0: D2850006 0000A505
	v_readlane_b32 s82, v3, 5                                  // 0000000053D8: D2890052 00010B03
	s_lshr_b32 s61, s82, 24                                    // 0000000053E0: 8F3D9852
	s_and_b32 s82, s82, 0xffffff                               // 0000000053E4: 8652FF52 00FFFFFF
	s_mul_i32 s82, s82, s71                                    // 0000000053EC: 92524752
	s_mul_i32 s61, s60, s61                                    // 0000000053F0: 923D3D3C
	s_add_u32 s82, s82, s61                                    // 0000000053F4: 80523D52
	v_mul_lo_u32 v7, v4, s82                                   // 0000000053F8: D2850007 0000A504
	v_add_u32_e32 v56, v6, v7                                  // 000000005400: 68700F06
	v_readlane_b32 s82, v3, 6                                  // 000000005404: D2890052 00010D03
	s_lshr_b32 s61, s82, 24                                    // 00000000540C: 8F3D9852
	s_and_b32 s82, s82, 0xffffff                               // 000000005410: 8652FF52 00FFFFFF
	s_mul_i32 s82, s82, s71                                    // 000000005418: 92524752
	s_mul_i32 s61, s60, s61                                    // 00000000541C: 923D3D3C
	s_add_u32 s82, s82, s61                                    // 000000005420: 80523D52
	v_mul_lo_u32 v6, v5, s82                                   // 000000005424: D2850006 0000A505
	v_readlane_b32 s82, v3, 7                                  // 00000000542C: D2890052 00010F03
	s_lshr_b32 s61, s82, 24                                    // 000000005434: 8F3D9852
	s_and_b32 s82, s82, 0xffffff                               // 000000005438: 8652FF52 00FFFFFF
	s_mul_i32 s82, s82, s71                                    // 000000005440: 92524752
	s_mul_i32 s61, s60, s61                                    // 000000005444: 923D3D3C
	s_add_u32 s82, s82, s61                                    // 000000005448: 80523D52
	v_mul_lo_u32 v7, v4, s82                                   // 00000000544C: D2850007 0000A504
	v_add_u32_e32 v57, v6, v7                                  // 000000005454: 68720F06
	v_readlane_b32 s82, v3, 8                                  // 000000005458: D2890052 00011103
	s_lshr_b32 s61, s82, 24                                    // 000000005460: 8F3D9852
	s_and_b32 s82, s82, 0xffffff                               // 000000005464: 8652FF52 00FFFFFF
	s_mul_i32 s82, s82, s71                                    // 00000000546C: 92524752
	s_mul_i32 s61, s60, s61                                    // 000000005470: 923D3D3C
	s_add_u32 s82, s82, s61                                    // 000000005474: 80523D52
	v_mul_lo_u32 v6, v5, s82                                   // 000000005478: D2850006 0000A505
	v_readlane_b32 s82, v3, 9                                  // 000000005480: D2890052 00011303
	s_lshr_b32 s61, s82, 24                                    // 000000005488: 8F3D9852
	s_and_b32 s82, s82, 0xffffff                               // 00000000548C: 8652FF52 00FFFFFF
	s_mul_i32 s82, s82, s71                                    // 000000005494: 92524752
	s_mul_i32 s61, s60, s61                                    // 000000005498: 923D3D3C
	s_add_u32 s82, s82, s61                                    // 00000000549C: 80523D52
	v_mul_lo_u32 v7, v4, s82                                   // 0000000054A0: D2850007 0000A504
	v_add_u32_e32 v58, v6, v7                                  // 0000000054A8: 68740F06
	v_readlane_b32 s82, v3, 10                                 // 0000000054AC: D2890052 00011503
	s_lshr_b32 s61, s82, 24                                    // 0000000054B4: 8F3D9852
	s_and_b32 s82, s82, 0xffffff                               // 0000000054B8: 8652FF52 00FFFFFF
	s_mul_i32 s82, s82, s71                                    // 0000000054C0: 92524752
	s_mul_i32 s61, s60, s61                                    // 0000000054C4: 923D3D3C
	s_add_u32 s82, s82, s61                                    // 0000000054C8: 80523D52
	v_mul_lo_u32 v6, v5, s82                                   // 0000000054CC: D2850006 0000A505
	v_readlane_b32 s82, v3, 11                                 // 0000000054D4: D2890052 00011703
	s_lshr_b32 s61, s82, 24                                    // 0000000054DC: 8F3D9852
	s_and_b32 s82, s82, 0xffffff                               // 0000000054E0: 8652FF52 00FFFFFF
	s_mul_i32 s82, s82, s71                                    // 0000000054E8: 92524752
	s_mul_i32 s61, s60, s61                                    // 0000000054EC: 923D3D3C
	s_add_u32 s82, s82, s61                                    // 0000000054F0: 80523D52
	v_mul_lo_u32 v7, v4, s82                                   // 0000000054F4: D2850007 0000A504
	v_add_u32_e32 v59, v6, v7                                  // 0000000054FC: 68760F06
	v_readlane_b32 s82, v3, 12                                 // 000000005500: D2890052 00011903
	s_lshr_b32 s61, s82, 24                                    // 000000005508: 8F3D9852
	s_and_b32 s82, s82, 0xffffff                               // 00000000550C: 8652FF52 00FFFFFF
	s_mul_i32 s82, s82, s71                                    // 000000005514: 92524752
	s_mul_i32 s61, s60, s61                                    // 000000005518: 923D3D3C
	s_add_u32 s82, s82, s61                                    // 00000000551C: 80523D52
	v_mul_lo_u32 v6, v5, s82                                   // 000000005520: D2850006 0000A505
	v_readlane_b32 s82, v3, 13                                 // 000000005528: D2890052 00011B03
	s_lshr_b32 s61, s82, 24                                    // 000000005530: 8F3D9852
	s_and_b32 s82, s82, 0xffffff                               // 000000005534: 8652FF52 00FFFFFF
	s_mul_i32 s82, s82, s71                                    // 00000000553C: 92524752
	s_mul_i32 s61, s60, s61                                    // 000000005540: 923D3D3C
	s_add_u32 s82, s82, s61                                    // 000000005544: 80523D52
	v_mul_lo_u32 v7, v4, s82                                   // 000000005548: D2850007 0000A504
	v_add_u32_e32 v60, v6, v7                                  // 000000005550: 68780F06
	v_readlane_b32 s82, v3, 14                                 // 000000005554: D2890052 00011D03
	s_lshr_b32 s61, s82, 24                                    // 00000000555C: 8F3D9852
	s_and_b32 s82, s82, 0xffffff                               // 000000005560: 8652FF52 00FFFFFF
	s_mul_i32 s82, s82, s71                                    // 000000005568: 92524752
	s_mul_i32 s61, s60, s61                                    // 00000000556C: 923D3D3C
	s_add_u32 s82, s82, s61                                    // 000000005570: 80523D52
	v_mul_lo_u32 v6, v5, s82                                   // 000000005574: D2850006 0000A505
	v_readlane_b32 s82, v3, 15                                 // 00000000557C: D2890052 00011F03
	s_lshr_b32 s61, s82, 24                                    // 000000005584: 8F3D9852
	s_and_b32 s82, s82, 0xffffff                               // 000000005588: 8652FF52 00FFFFFF
	s_mul_i32 s82, s82, s71                                    // 000000005590: 92524752
	s_mul_i32 s61, s60, s61                                    // 000000005594: 923D3D3C
	s_add_u32 s82, s82, s61                                    // 000000005598: 80523D52
	v_mul_lo_u32 v7, v4, s82                                   // 00000000559C: D2850007 0000A504
	v_add_u32_e32 v61, v6, v7                                  // 0000000055A4: 687A0F06
	v_readlane_b32 s82, v3, 16                                 // 0000000055A8: D2890052 00012103
	s_lshr_b32 s61, s82, 24                                    // 0000000055B0: 8F3D9852
	s_and_b32 s82, s82, 0xffffff                               // 0000000055B4: 8652FF52 00FFFFFF
	s_mul_i32 s82, s82, s71                                    // 0000000055BC: 92524752
	s_mul_i32 s61, s60, s61                                    // 0000000055C0: 923D3D3C
	s_add_u32 s82, s82, s61                                    // 0000000055C4: 80523D52
	v_mul_lo_u32 v6, v5, s82                                   // 0000000055C8: D2850006 0000A505
	v_readlane_b32 s82, v3, 17                                 // 0000000055D0: D2890052 00012303
	s_lshr_b32 s61, s82, 24                                    // 0000000055D8: 8F3D9852
	s_and_b32 s82, s82, 0xffffff                               // 0000000055DC: 8652FF52 00FFFFFF
	s_mul_i32 s82, s82, s71                                    // 0000000055E4: 92524752
	s_mul_i32 s61, s60, s61                                    // 0000000055E8: 923D3D3C
	s_add_u32 s82, s82, s61                                    // 0000000055EC: 80523D52
	v_mul_lo_u32 v7, v4, s82                                   // 0000000055F0: D2850007 0000A504
	v_add_u32_e32 v62, v6, v7                                  // 0000000055F8: 687C0F06
	v_readlane_b32 s82, v3, 18                                 // 0000000055FC: D2890052 00012503
	s_lshr_b32 s61, s82, 24                                    // 000000005604: 8F3D9852
	s_and_b32 s82, s82, 0xffffff                               // 000000005608: 8652FF52 00FFFFFF
	s_mul_i32 s82, s82, s71                                    // 000000005610: 92524752
	s_mul_i32 s61, s60, s61                                    // 000000005614: 923D3D3C
	s_add_u32 s82, s82, s61                                    // 000000005618: 80523D52
	v_mul_lo_u32 v6, v5, s82                                   // 00000000561C: D2850006 0000A505
	v_readlane_b32 s82, v3, 19                                 // 000000005624: D2890052 00012703
	s_lshr_b32 s61, s82, 24                                    // 00000000562C: 8F3D9852
	s_and_b32 s82, s82, 0xffffff                               // 000000005630: 8652FF52 00FFFFFF
	s_mul_i32 s82, s82, s71                                    // 000000005638: 92524752
	s_mul_i32 s61, s60, s61                                    // 00000000563C: 923D3D3C
	s_add_u32 s82, s82, s61                                    // 000000005640: 80523D52
	v_mul_lo_u32 v7, v4, s82                                   // 000000005644: D2850007 0000A504
	v_add_u32_e32 v63, v6, v7                                  // 00000000564C: 687E0F06
	v_readlane_b32 s82, v3, 20                                 // 000000005650: D2890052 00012903
	s_lshr_b32 s61, s82, 24                                    // 000000005658: 8F3D9852
	s_and_b32 s82, s82, 0xffffff                               // 00000000565C: 8652FF52 00FFFFFF
	s_mul_i32 s82, s82, s71                                    // 000000005664: 92524752
	s_mul_i32 s61, s60, s61                                    // 000000005668: 923D3D3C
	s_add_u32 s82, s82, s61                                    // 00000000566C: 80523D52
	v_mul_lo_u32 v6, v5, s82                                   // 000000005670: D2850006 0000A505
	v_readlane_b32 s82, v3, 21                                 // 000000005678: D2890052 00012B03
	s_lshr_b32 s61, s82, 24                                    // 000000005680: 8F3D9852
	s_and_b32 s82, s82, 0xffffff                               // 000000005684: 8652FF52 00FFFFFF
	s_mul_i32 s82, s82, s71                                    // 00000000568C: 92524752
	s_mul_i32 s61, s60, s61                                    // 000000005690: 923D3D3C
	s_add_u32 s82, s82, s61                                    // 000000005694: 80523D52
	v_mul_lo_u32 v7, v4, s82                                   // 000000005698: D2850007 0000A504
	v_add_u32_e32 v64, v6, v7                                  // 0000000056A0: 68800F06
	v_readlane_b32 s82, v3, 22                                 // 0000000056A4: D2890052 00012D03
	s_lshr_b32 s61, s82, 24                                    // 0000000056AC: 8F3D9852
	s_and_b32 s82, s82, 0xffffff                               // 0000000056B0: 8652FF52 00FFFFFF
	s_mul_i32 s82, s82, s71                                    // 0000000056B8: 92524752
	s_mul_i32 s61, s60, s61                                    // 0000000056BC: 923D3D3C
	s_add_u32 s82, s82, s61                                    // 0000000056C0: 80523D52
	v_mul_lo_u32 v6, v5, s82                                   // 0000000056C4: D2850006 0000A505
	v_readlane_b32 s82, v3, 23                                 // 0000000056CC: D2890052 00012F03
	s_lshr_b32 s61, s82, 24                                    // 0000000056D4: 8F3D9852
	s_and_b32 s82, s82, 0xffffff                               // 0000000056D8: 8652FF52 00FFFFFF
	s_mul_i32 s82, s82, s71                                    // 0000000056E0: 92524752
	s_mul_i32 s61, s60, s61                                    // 0000000056E4: 923D3D3C
	s_add_u32 s82, s82, s61                                    // 0000000056E8: 80523D52
	v_mul_lo_u32 v7, v4, s82                                   // 0000000056EC: D2850007 0000A504
	v_add_u32_e32 v65, v6, v7                                  // 0000000056F4: 68820F06
	v_and_b32_e32 v4, 31, v0                                   // 0000000056F8: 2608009F
	v_lshrrev_b32_e32 v4, 1, v4                                // 0000000056FC: 20080881
	s_cmp_eq_u32 s88, 0                                        // 000000005700: BF068058
	s_cselect_b32 s61, 2, 4                                    // 000000005704: 853D8482
	v_mul_lo_u32 v4, v4, s61                                   // 000000005708: D2850004 00007B04
	v_and_b32_e64 v5, v0, 1                                    // 000000005710: D1130005 00010300
	v_add_u32_e32 v4, v4, v5                                   // 000000005718: 68080B04
	v_lshlrev_b32_e32 v4, 2, v4                                // 00000000571C: 24080882
	v_add_u32_e32 v54, v54, v4                                 // 000000005720: 686C0936
	v_add_u32_e32 v55, v55, v4                                 // 000000005724: 686E0937
	v_add_u32_e32 v56, v56, v4                                 // 000000005728: 68700938
	v_add_u32_e32 v57, v57, v4                                 // 00000000572C: 68720939
	v_add_u32_e32 v58, v58, v4                                 // 000000005730: 6874093A
	v_add_u32_e32 v59, v59, v4                                 // 000000005734: 6876093B
	v_add_u32_e32 v60, v60, v4                                 // 000000005738: 6878093C
	v_add_u32_e32 v61, v61, v4                                 // 00000000573C: 687A093D
	v_add_u32_e32 v62, v62, v4                                 // 000000005740: 687C093E
	v_add_u32_e32 v63, v63, v4                                 // 000000005744: 687E093F
	v_add_u32_e32 v64, v64, v4                                 // 000000005748: 68800940
	v_add_u32_e32 v65, v65, v4                                 // 00000000574C: 68820941
	s_waitcnt lgkmcnt(0)                                       // 000000005750: BF8CC07F
	s_barrier                                                  // 000000005754: BF8A0000
	ds_read_b32 v68, v21                                       // 000000005758: D86C0000 44000015
	ds_read_b32 v69, v21 offset:64                             // 000000005760: D86C0040 45000015
	ds_read_b32 v70, v21 offset:2176                           // 000000005768: D86C0880 46000015
	ds_read_b32 v71, v21 offset:2240                           // 000000005770: D86C08C0 47000015
	ds_read_b32 v72, v21 offset:4352                           // 000000005778: D86C1100 48000015
	ds_read_b32 v73, v21 offset:4416                           // 000000005780: D86C1140 49000015
	ds_read_b32 v74, v21 offset:6528                           // 000000005788: D86C1980 4A000015
	ds_read_b32 v75, v21 offset:6592                           // 000000005790: D86C19C0 4B000015
	ds_read_b32 v76, v21 offset:8704                           // 000000005798: D86C2200 4C000015
	ds_read_b32 v77, v21 offset:8768                           // 0000000057A0: D86C2240 4D000015
	ds_read_b32 v78, v21 offset:10880                          // 0000000057A8: D86C2A80 4E000015
	ds_read_b32 v79, v21 offset:10944                          // 0000000057B0: D86C2AC0 4F000015
	s_waitcnt lgkmcnt(0)                                       // 0000000057B8: BF8CC07F
	s_mov_b32 s36, -1                                          // 0000000057BC: BEA400C1
	s_mov_b32 s37, -1                                          // 0000000057C0: BEA500C1
	v_mov_b32_e32 v7, 0                                        // 0000000057C4: 7E0E0280
	s_or_b32 s9, s9, 0x40000                                   // 0000000057C8: 8709FF09 00040000
	s_mov_b64 exec, s[36:37]                                   // 0000000057D0: BEFE0124
	v_mov_b32_e32 v6, v54                                      // 0000000057D4: 7E0C0336
	s_mov_b64 s[60:61], 0                                      // 0000000057D8: BEBC0180
	v_readlane_b32 s82, v3, 0                                  // 0000000057DC: D2890052 00010103
	s_and_b32 s82, s82, 0xffffff                               // 0000000057E4: 8652FF52 00FFFFFF
	s_cmp_lt_u32 s82, s66                                      // 0000000057EC: BF0A4252
	s_cselect_b32 s20, s36, s60                                // 0000000057F0: 85143C24
	v_readlane_b32 s82, v3, 1                                  // 0000000057F4: D2890052 00010303
	s_and_b32 s82, s82, 0xffffff                               // 0000000057FC: 8652FF52 00FFFFFF
	s_cmp_lt_u32 s82, s66                                      // 000000005804: BF0A4252
	s_cselect_b32 s21, s36, s60                                // 000000005808: 85153C24
	s_mov_b64 exec, s[20:21]                                   // 00000000580C: BEFE0114
	buffer_store_dword v68, v6, s[8:11], 0 offen               // 000000005810: E0701000 80024406
	s_mov_b64 exec, s[36:37]                                   // 000000005818: BEFE0124
	v_mov_b32_e32 v6, v55                                      // 00000000581C: 7E0C0337
	s_mov_b64 s[60:61], 0                                      // 000000005820: BEBC0180
	v_readlane_b32 s82, v3, 2                                  // 000000005824: D2890052 00010503
	s_and_b32 s82, s82, 0xffffff                               // 00000000582C: 8652FF52 00FFFFFF
	s_cmp_lt_u32 s82, s66                                      // 000000005834: BF0A4252
	s_cselect_b32 s20, s36, s60                                // 000000005838: 85143C24
	v_readlane_b32 s82, v3, 3                                  // 00000000583C: D2890052 00010703
	s_and_b32 s82, s82, 0xffffff                               // 000000005844: 8652FF52 00FFFFFF
	s_cmp_lt_u32 s82, s66                                      // 00000000584C: BF0A4252
	s_cselect_b32 s21, s36, s60                                // 000000005850: 85153C24
	s_mov_b64 exec, s[20:21]                                   // 000000005854: BEFE0114
	buffer_store_dword v69, v6, s[8:11], 0 offen               // 000000005858: E0701000 80024506
	s_mov_b64 exec, s[36:37]                                   // 000000005860: BEFE0124
	v_mov_b32_e32 v6, v56                                      // 000000005864: 7E0C0338
	s_mov_b64 s[60:61], 0                                      // 000000005868: BEBC0180
	v_readlane_b32 s82, v3, 4                                  // 00000000586C: D2890052 00010903
	s_and_b32 s82, s82, 0xffffff                               // 000000005874: 8652FF52 00FFFFFF
	s_cmp_lt_u32 s82, s66                                      // 00000000587C: BF0A4252
	s_cselect_b32 s20, s36, s60                                // 000000005880: 85143C24
	v_readlane_b32 s82, v3, 5                                  // 000000005884: D2890052 00010B03
	s_and_b32 s82, s82, 0xffffff                               // 00000000588C: 8652FF52 00FFFFFF
	s_cmp_lt_u32 s82, s66                                      // 000000005894: BF0A4252
	s_cselect_b32 s21, s36, s60                                // 000000005898: 85153C24
	s_mov_b64 exec, s[20:21]                                   // 00000000589C: BEFE0114
	buffer_store_dword v70, v6, s[8:11], 0 offen               // 0000000058A0: E0701000 80024606
	s_mov_b64 exec, s[36:37]                                   // 0000000058A8: BEFE0124
	v_mov_b32_e32 v6, v57                                      // 0000000058AC: 7E0C0339
	s_mov_b64 s[60:61], 0                                      // 0000000058B0: BEBC0180
	v_readlane_b32 s82, v3, 6                                  // 0000000058B4: D2890052 00010D03
	s_and_b32 s82, s82, 0xffffff                               // 0000000058BC: 8652FF52 00FFFFFF
	s_cmp_lt_u32 s82, s66                                      // 0000000058C4: BF0A4252
	s_cselect_b32 s20, s36, s60                                // 0000000058C8: 85143C24
	v_readlane_b32 s82, v3, 7                                  // 0000000058CC: D2890052 00010F03
	s_and_b32 s82, s82, 0xffffff                               // 0000000058D4: 8652FF52 00FFFFFF
	s_cmp_lt_u32 s82, s66                                      // 0000000058DC: BF0A4252
	s_cselect_b32 s21, s36, s60                                // 0000000058E0: 85153C24
	s_mov_b64 exec, s[20:21]                                   // 0000000058E4: BEFE0114
	buffer_store_dword v71, v6, s[8:11], 0 offen               // 0000000058E8: E0701000 80024706
	s_mov_b64 exec, s[36:37]                                   // 0000000058F0: BEFE0124
	v_mov_b32_e32 v6, v58                                      // 0000000058F4: 7E0C033A
	s_mov_b64 s[60:61], 0                                      // 0000000058F8: BEBC0180
	v_readlane_b32 s82, v3, 8                                  // 0000000058FC: D2890052 00011103
	s_and_b32 s82, s82, 0xffffff                               // 000000005904: 8652FF52 00FFFFFF
	s_cmp_lt_u32 s82, s66                                      // 00000000590C: BF0A4252
	s_cselect_b32 s20, s36, s60                                // 000000005910: 85143C24
	v_readlane_b32 s82, v3, 9                                  // 000000005914: D2890052 00011303
	s_and_b32 s82, s82, 0xffffff                               // 00000000591C: 8652FF52 00FFFFFF
	s_cmp_lt_u32 s82, s66                                      // 000000005924: BF0A4252
	s_cselect_b32 s21, s36, s60                                // 000000005928: 85153C24
	s_mov_b64 exec, s[20:21]                                   // 00000000592C: BEFE0114
	buffer_store_dword v72, v6, s[8:11], 0 offen               // 000000005930: E0701000 80024806
	s_mov_b64 exec, s[36:37]                                   // 000000005938: BEFE0124
	v_mov_b32_e32 v6, v59                                      // 00000000593C: 7E0C033B
	s_mov_b64 s[60:61], 0                                      // 000000005940: BEBC0180
	v_readlane_b32 s82, v3, 10                                 // 000000005944: D2890052 00011503
	s_and_b32 s82, s82, 0xffffff                               // 00000000594C: 8652FF52 00FFFFFF
	s_cmp_lt_u32 s82, s66                                      // 000000005954: BF0A4252
	s_cselect_b32 s20, s36, s60                                // 000000005958: 85143C24
	v_readlane_b32 s82, v3, 11                                 // 00000000595C: D2890052 00011703
	s_and_b32 s82, s82, 0xffffff                               // 000000005964: 8652FF52 00FFFFFF
	s_cmp_lt_u32 s82, s66                                      // 00000000596C: BF0A4252
	s_cselect_b32 s21, s36, s60                                // 000000005970: 85153C24
	s_mov_b64 exec, s[20:21]                                   // 000000005974: BEFE0114
	buffer_store_dword v73, v6, s[8:11], 0 offen               // 000000005978: E0701000 80024906
	s_mov_b64 exec, s[36:37]                                   // 000000005980: BEFE0124
	v_mov_b32_e32 v6, v60                                      // 000000005984: 7E0C033C
	s_mov_b64 s[60:61], 0                                      // 000000005988: BEBC0180
	v_readlane_b32 s82, v3, 12                                 // 00000000598C: D2890052 00011903
	s_and_b32 s82, s82, 0xffffff                               // 000000005994: 8652FF52 00FFFFFF
	s_cmp_lt_u32 s82, s66                                      // 00000000599C: BF0A4252
	s_cselect_b32 s20, s36, s60                                // 0000000059A0: 85143C24
	v_readlane_b32 s82, v3, 13                                 // 0000000059A4: D2890052 00011B03
	s_and_b32 s82, s82, 0xffffff                               // 0000000059AC: 8652FF52 00FFFFFF
	s_cmp_lt_u32 s82, s66                                      // 0000000059B4: BF0A4252
	s_cselect_b32 s21, s36, s60                                // 0000000059B8: 85153C24
	s_mov_b64 exec, s[20:21]                                   // 0000000059BC: BEFE0114
	buffer_store_dword v74, v6, s[8:11], 0 offen               // 0000000059C0: E0701000 80024A06
	s_mov_b64 exec, s[36:37]                                   // 0000000059C8: BEFE0124
	v_mov_b32_e32 v6, v61                                      // 0000000059CC: 7E0C033D
	s_mov_b64 s[60:61], 0                                      // 0000000059D0: BEBC0180
	v_readlane_b32 s82, v3, 14                                 // 0000000059D4: D2890052 00011D03
	s_and_b32 s82, s82, 0xffffff                               // 0000000059DC: 8652FF52 00FFFFFF
	s_cmp_lt_u32 s82, s66                                      // 0000000059E4: BF0A4252
	s_cselect_b32 s20, s36, s60                                // 0000000059E8: 85143C24
	v_readlane_b32 s82, v3, 15                                 // 0000000059EC: D2890052 00011F03
	s_and_b32 s82, s82, 0xffffff                               // 0000000059F4: 8652FF52 00FFFFFF
	s_cmp_lt_u32 s82, s66                                      // 0000000059FC: BF0A4252
	s_cselect_b32 s21, s36, s60                                // 000000005A00: 85153C24
	s_mov_b64 exec, s[20:21]                                   // 000000005A04: BEFE0114
	buffer_store_dword v75, v6, s[8:11], 0 offen               // 000000005A08: E0701000 80024B06
	s_mov_b64 exec, s[36:37]                                   // 000000005A10: BEFE0124
	v_mov_b32_e32 v6, v62                                      // 000000005A14: 7E0C033E
	s_mov_b64 s[60:61], 0                                      // 000000005A18: BEBC0180
	v_readlane_b32 s82, v3, 16                                 // 000000005A1C: D2890052 00012103
	s_and_b32 s82, s82, 0xffffff                               // 000000005A24: 8652FF52 00FFFFFF
	s_cmp_lt_u32 s82, s66                                      // 000000005A2C: BF0A4252
	s_cselect_b32 s20, s36, s60                                // 000000005A30: 85143C24
	v_readlane_b32 s82, v3, 17                                 // 000000005A34: D2890052 00012303
	s_and_b32 s82, s82, 0xffffff                               // 000000005A3C: 8652FF52 00FFFFFF
	s_cmp_lt_u32 s82, s66                                      // 000000005A44: BF0A4252
	s_cselect_b32 s21, s36, s60                                // 000000005A48: 85153C24
	s_mov_b64 exec, s[20:21]                                   // 000000005A4C: BEFE0114
	buffer_store_dword v76, v6, s[8:11], 0 offen               // 000000005A50: E0701000 80024C06
	s_mov_b64 exec, s[36:37]                                   // 000000005A58: BEFE0124
	v_mov_b32_e32 v6, v63                                      // 000000005A5C: 7E0C033F
	s_mov_b64 s[60:61], 0                                      // 000000005A60: BEBC0180
	v_readlane_b32 s82, v3, 18                                 // 000000005A64: D2890052 00012503
	s_and_b32 s82, s82, 0xffffff                               // 000000005A6C: 8652FF52 00FFFFFF
	s_cmp_lt_u32 s82, s66                                      // 000000005A74: BF0A4252
	s_cselect_b32 s20, s36, s60                                // 000000005A78: 85143C24
	v_readlane_b32 s82, v3, 19                                 // 000000005A7C: D2890052 00012703
	s_and_b32 s82, s82, 0xffffff                               // 000000005A84: 8652FF52 00FFFFFF
	s_cmp_lt_u32 s82, s66                                      // 000000005A8C: BF0A4252
	s_cselect_b32 s21, s36, s60                                // 000000005A90: 85153C24
	s_mov_b64 exec, s[20:21]                                   // 000000005A94: BEFE0114
	buffer_store_dword v77, v6, s[8:11], 0 offen               // 000000005A98: E0701000 80024D06
	s_mov_b64 exec, s[36:37]                                   // 000000005AA0: BEFE0124
	v_mov_b32_e32 v6, v64                                      // 000000005AA4: 7E0C0340
	s_mov_b64 s[60:61], 0                                      // 000000005AA8: BEBC0180
	v_readlane_b32 s82, v3, 20                                 // 000000005AAC: D2890052 00012903
	s_and_b32 s82, s82, 0xffffff                               // 000000005AB4: 8652FF52 00FFFFFF
	s_cmp_lt_u32 s82, s66                                      // 000000005ABC: BF0A4252
	s_cselect_b32 s20, s36, s60                                // 000000005AC0: 85143C24
	v_readlane_b32 s82, v3, 21                                 // 000000005AC4: D2890052 00012B03
	s_and_b32 s82, s82, 0xffffff                               // 000000005ACC: 8652FF52 00FFFFFF
	s_cmp_lt_u32 s82, s66                                      // 000000005AD4: BF0A4252
	s_cselect_b32 s21, s36, s60                                // 000000005AD8: 85153C24
	s_mov_b64 exec, s[20:21]                                   // 000000005ADC: BEFE0114
	buffer_store_dword v78, v6, s[8:11], 0 offen               // 000000005AE0: E0701000 80024E06
	s_mov_b64 exec, s[36:37]                                   // 000000005AE8: BEFE0124
	v_mov_b32_e32 v6, v65                                      // 000000005AEC: 7E0C0341
	s_mov_b64 s[60:61], 0                                      // 000000005AF0: BEBC0180
	v_readlane_b32 s82, v3, 22                                 // 000000005AF4: D2890052 00012D03
	s_and_b32 s82, s82, 0xffffff                               // 000000005AFC: 8652FF52 00FFFFFF
	s_cmp_lt_u32 s82, s66                                      // 000000005B04: BF0A4252
	s_cselect_b32 s20, s36, s60                                // 000000005B08: 85143C24
	v_readlane_b32 s82, v3, 23                                 // 000000005B0C: D2890052 00012F03
	s_and_b32 s82, s82, 0xffffff                               // 000000005B14: 8652FF52 00FFFFFF
	s_cmp_lt_u32 s82, s66                                      // 000000005B1C: BF0A4252
	s_cselect_b32 s21, s36, s60                                // 000000005B20: 85153C24
	s_mov_b64 exec, s[20:21]                                   // 000000005B24: BEFE0114
	buffer_store_dword v79, v6, s[8:11], 0 offen               // 000000005B28: E0701000 80024F06
	s_mov_b64 exec, s[36:37]                                   // 000000005B30: BEFE0124
	s_branch label_209B                                        // 000000005B34: BF82140A

0000000000005b38 <label_0C8E>:
	ds_write_b64 v20, v[68:69]                                 // 000000005B38: D89A0000 00004414
	ds_write_b64 v20, v[72:73] offset:2176                     // 000000005B40: D89A0880 00004814
	ds_write_b64 v20, v[76:77] offset:4352                     // 000000005B48: D89A1100 00004C14
	ds_write_b64 v20, v[80:81] offset:6528                     // 000000005B50: D89A1980 00005014
	ds_write_b64 v20, v[84:85] offset:8704                     // 000000005B58: D89A2200 00005414
	ds_write_b64 v20, v[88:89] offset:10880                    // 000000005B60: D89A2A80 00005814
	v_lshrrev_b32_e32 v4, 5, v0                                // 000000005B68: 20080085
	v_xor_b32_e32 v5, 1, v4                                    // 000000005B6C: 2A0A0881
	s_mul_i32 s60, s65, 2                                      // 000000005B70: 923C8241
	s_cmp_eq_u32 s88, 0                                        // 000000005B74: BF068058
	s_cselect_b32 s61, 1, 4                                    // 000000005B78: 853D8481
	s_mul_i32 s60, s61, s60                                    // 000000005B7C: 923C3C3D
	v_readlane_b32 s82, v3, 0                                  // 000000005B80: D2890052 00010103
	s_lshr_b32 s61, s82, 24                                    // 000000005B88: 8F3D9852
	s_and_b32 s82, s82, 0xffffff                               // 000000005B8C: 8652FF52 00FFFFFF
	s_mul_i32 s82, s82, s71                                    // 000000005B94: 92524752
	s_mul_i32 s61, s60, s61                                    // 000000005B98: 923D3D3C
	s_add_u32 s82, s82, s61                                    // 000000005B9C: 80523D52
	v_mul_lo_u32 v6, v5, s82                                   // 000000005BA0: D2850006 0000A505
	v_readlane_b32 s82, v3, 1                                  // 000000005BA8: D2890052 00010303
	s_lshr_b32 s61, s82, 24                                    // 000000005BB0: 8F3D9852
	s_and_b32 s82, s82, 0xffffff                               // 000000005BB4: 8652FF52 00FFFFFF
	s_mul_i32 s82, s82, s71                                    // 000000005BBC: 92524752
	s_mul_i32 s61, s60, s61                                    // 000000005BC0: 923D3D3C
	s_add_u32 s82, s82, s61                                    // 000000005BC4: 80523D52
	v_mul_lo_u32 v7, v4, s82                                   // 000000005BC8: D2850007 0000A504
	v_add_u32_e32 v54, v6, v7                                  // 000000005BD0: 686C0F06
	v_readlane_b32 s82, v3, 2                                  // 000000005BD4: D2890052 00010503
	s_lshr_b32 s61, s82, 24                                    // 000000005BDC: 8F3D9852
	s_and_b32 s82, s82, 0xffffff                               // 000000005BE0: 8652FF52 00FFFFFF
	s_mul_i32 s82, s82, s71                                    // 000000005BE8: 92524752
	s_mul_i32 s61, s60, s61                                    // 000000005BEC: 923D3D3C
	s_add_u32 s82, s82, s61                                    // 000000005BF0: 80523D52
	v_mul_lo_u32 v6, v5, s82                                   // 000000005BF4: D2850006 0000A505
	v_readlane_b32 s82, v3, 3                                  // 000000005BFC: D2890052 00010703
	s_lshr_b32 s61, s82, 24                                    // 000000005C04: 8F3D9852
	s_and_b32 s82, s82, 0xffffff                               // 000000005C08: 8652FF52 00FFFFFF
	s_mul_i32 s82, s82, s71                                    // 000000005C10: 92524752
	s_mul_i32 s61, s60, s61                                    // 000000005C14: 923D3D3C
	s_add_u32 s82, s82, s61                                    // 000000005C18: 80523D52
	v_mul_lo_u32 v7, v4, s82                                   // 000000005C1C: D2850007 0000A504
	v_add_u32_e32 v55, v6, v7                                  // 000000005C24: 686E0F06
	v_readlane_b32 s82, v3, 4                                  // 000000005C28: D2890052 00010903
	s_lshr_b32 s61, s82, 24                                    // 000000005C30: 8F3D9852
	s_and_b32 s82, s82, 0xffffff                               // 000000005C34: 8652FF52 00FFFFFF
	s_mul_i32 s82, s82, s71                                    // 000000005C3C: 92524752
	s_mul_i32 s61, s60, s61                                    // 000000005C40: 923D3D3C
	s_add_u32 s82, s82, s61                                    // 000000005C44: 80523D52
	v_mul_lo_u32 v6, v5, s82                                   // 000000005C48: D2850006 0000A505
	v_readlane_b32 s82, v3, 5                                  // 000000005C50: D2890052 00010B03
	s_lshr_b32 s61, s82, 24                                    // 000000005C58: 8F3D9852
	s_and_b32 s82, s82, 0xffffff                               // 000000005C5C: 8652FF52 00FFFFFF
	s_mul_i32 s82, s82, s71                                    // 000000005C64: 92524752
	s_mul_i32 s61, s60, s61                                    // 000000005C68: 923D3D3C
	s_add_u32 s82, s82, s61                                    // 000000005C6C: 80523D52
	v_mul_lo_u32 v7, v4, s82                                   // 000000005C70: D2850007 0000A504
	v_add_u32_e32 v56, v6, v7                                  // 000000005C78: 68700F06
	v_readlane_b32 s82, v3, 6                                  // 000000005C7C: D2890052 00010D03
	s_lshr_b32 s61, s82, 24                                    // 000000005C84: 8F3D9852
	s_and_b32 s82, s82, 0xffffff                               // 000000005C88: 8652FF52 00FFFFFF
	s_mul_i32 s82, s82, s71                                    // 000000005C90: 92524752
	s_mul_i32 s61, s60, s61                                    // 000000005C94: 923D3D3C
	s_add_u32 s82, s82, s61                                    // 000000005C98: 80523D52
	v_mul_lo_u32 v6, v5, s82                                   // 000000005C9C: D2850006 0000A505
	v_readlane_b32 s82, v3, 7                                  // 000000005CA4: D2890052 00010F03
	s_lshr_b32 s61, s82, 24                                    // 000000005CAC: 8F3D9852
	s_and_b32 s82, s82, 0xffffff                               // 000000005CB0: 8652FF52 00FFFFFF
	s_mul_i32 s82, s82, s71                                    // 000000005CB8: 92524752
	s_mul_i32 s61, s60, s61                                    // 000000005CBC: 923D3D3C
	s_add_u32 s82, s82, s61                                    // 000000005CC0: 80523D52
	v_mul_lo_u32 v7, v4, s82                                   // 000000005CC4: D2850007 0000A504
	v_add_u32_e32 v57, v6, v7                                  // 000000005CCC: 68720F06
	v_readlane_b32 s82, v3, 8                                  // 000000005CD0: D2890052 00011103
	s_lshr_b32 s61, s82, 24                                    // 000000005CD8: 8F3D9852
	s_and_b32 s82, s82, 0xffffff                               // 000000005CDC: 8652FF52 00FFFFFF
	s_mul_i32 s82, s82, s71                                    // 000000005CE4: 92524752
	s_mul_i32 s61, s60, s61                                    // 000000005CE8: 923D3D3C
	s_add_u32 s82, s82, s61                                    // 000000005CEC: 80523D52
	v_mul_lo_u32 v6, v5, s82                                   // 000000005CF0: D2850006 0000A505
	v_readlane_b32 s82, v3, 9                                  // 000000005CF8: D2890052 00011303
	s_lshr_b32 s61, s82, 24                                    // 000000005D00: 8F3D9852
	s_and_b32 s82, s82, 0xffffff                               // 000000005D04: 8652FF52 00FFFFFF
	s_mul_i32 s82, s82, s71                                    // 000000005D0C: 92524752
	s_mul_i32 s61, s60, s61                                    // 000000005D10: 923D3D3C
	s_add_u32 s82, s82, s61                                    // 000000005D14: 80523D52
	v_mul_lo_u32 v7, v4, s82                                   // 000000005D18: D2850007 0000A504
	v_add_u32_e32 v58, v6, v7                                  // 000000005D20: 68740F06
	v_readlane_b32 s82, v3, 10                                 // 000000005D24: D2890052 00011503
	s_lshr_b32 s61, s82, 24                                    // 000000005D2C: 8F3D9852
	s_and_b32 s82, s82, 0xffffff                               // 000000005D30: 8652FF52 00FFFFFF
	s_mul_i32 s82, s82, s71                                    // 000000005D38: 92524752
	s_mul_i32 s61, s60, s61                                    // 000000005D3C: 923D3D3C
	s_add_u32 s82, s82, s61                                    // 000000005D40: 80523D52
	v_mul_lo_u32 v6, v5, s82                                   // 000000005D44: D2850006 0000A505
	v_readlane_b32 s82, v3, 11                                 // 000000005D4C: D2890052 00011703
	s_lshr_b32 s61, s82, 24                                    // 000000005D54: 8F3D9852
	s_and_b32 s82, s82, 0xffffff                               // 000000005D58: 8652FF52 00FFFFFF
	s_mul_i32 s82, s82, s71                                    // 000000005D60: 92524752
	s_mul_i32 s61, s60, s61                                    // 000000005D64: 923D3D3C
	s_add_u32 s82, s82, s61                                    // 000000005D68: 80523D52
	v_mul_lo_u32 v7, v4, s82                                   // 000000005D6C: D2850007 0000A504
	v_add_u32_e32 v59, v6, v7                                  // 000000005D74: 68760F06
	v_readlane_b32 s82, v3, 12                                 // 000000005D78: D2890052 00011903
	s_lshr_b32 s61, s82, 24                                    // 000000005D80: 8F3D9852
	s_and_b32 s82, s82, 0xffffff                               // 000000005D84: 8652FF52 00FFFFFF
	s_mul_i32 s82, s82, s71                                    // 000000005D8C: 92524752
	s_mul_i32 s61, s60, s61                                    // 000000005D90: 923D3D3C
	s_add_u32 s82, s82, s61                                    // 000000005D94: 80523D52
	v_mul_lo_u32 v6, v5, s82                                   // 000000005D98: D2850006 0000A505
	v_readlane_b32 s82, v3, 13                                 // 000000005DA0: D2890052 00011B03
	s_lshr_b32 s61, s82, 24                                    // 000000005DA8: 8F3D9852
	s_and_b32 s82, s82, 0xffffff                               // 000000005DAC: 8652FF52 00FFFFFF
	s_mul_i32 s82, s82, s71                                    // 000000005DB4: 92524752
	s_mul_i32 s61, s60, s61                                    // 000000005DB8: 923D3D3C
	s_add_u32 s82, s82, s61                                    // 000000005DBC: 80523D52
	v_mul_lo_u32 v7, v4, s82                                   // 000000005DC0: D2850007 0000A504
	v_add_u32_e32 v60, v6, v7                                  // 000000005DC8: 68780F06
	v_readlane_b32 s82, v3, 14                                 // 000000005DCC: D2890052 00011D03
	s_lshr_b32 s61, s82, 24                                    // 000000005DD4: 8F3D9852
	s_and_b32 s82, s82, 0xffffff                               // 000000005DD8: 8652FF52 00FFFFFF
	s_mul_i32 s82, s82, s71                                    // 000000005DE0: 92524752
	s_mul_i32 s61, s60, s61                                    // 000000005DE4: 923D3D3C
	s_add_u32 s82, s82, s61                                    // 000000005DE8: 80523D52
	v_mul_lo_u32 v6, v5, s82                                   // 000000005DEC: D2850006 0000A505
	v_readlane_b32 s82, v3, 15                                 // 000000005DF4: D2890052 00011F03
	s_lshr_b32 s61, s82, 24                                    // 000000005DFC: 8F3D9852
	s_and_b32 s82, s82, 0xffffff                               // 000000005E00: 8652FF52 00FFFFFF
	s_mul_i32 s82, s82, s71                                    // 000000005E08: 92524752
	s_mul_i32 s61, s60, s61                                    // 000000005E0C: 923D3D3C
	s_add_u32 s82, s82, s61                                    // 000000005E10: 80523D52
	v_mul_lo_u32 v7, v4, s82                                   // 000000005E14: D2850007 0000A504
	v_add_u32_e32 v61, v6, v7                                  // 000000005E1C: 687A0F06
	v_readlane_b32 s82, v3, 16                                 // 000000005E20: D2890052 00012103
	s_lshr_b32 s61, s82, 24                                    // 000000005E28: 8F3D9852
	s_and_b32 s82, s82, 0xffffff                               // 000000005E2C: 8652FF52 00FFFFFF
	s_mul_i32 s82, s82, s71                                    // 000000005E34: 92524752
	s_mul_i32 s61, s60, s61                                    // 000000005E38: 923D3D3C
	s_add_u32 s82, s82, s61                                    // 000000005E3C: 80523D52
	v_mul_lo_u32 v6, v5, s82                                   // 000000005E40: D2850006 0000A505
	v_readlane_b32 s82, v3, 17                                 // 000000005E48: D2890052 00012303
	s_lshr_b32 s61, s82, 24                                    // 000000005E50: 8F3D9852
	s_and_b32 s82, s82, 0xffffff                               // 000000005E54: 8652FF52 00FFFFFF
	s_mul_i32 s82, s82, s71                                    // 000000005E5C: 92524752
	s_mul_i32 s61, s60, s61                                    // 000000005E60: 923D3D3C
	s_add_u32 s82, s82, s61                                    // 000000005E64: 80523D52
	v_mul_lo_u32 v7, v4, s82                                   // 000000005E68: D2850007 0000A504
	v_add_u32_e32 v62, v6, v7                                  // 000000005E70: 687C0F06
	v_readlane_b32 s82, v3, 18                                 // 000000005E74: D2890052 00012503
	s_lshr_b32 s61, s82, 24                                    // 000000005E7C: 8F3D9852
	s_and_b32 s82, s82, 0xffffff                               // 000000005E80: 8652FF52 00FFFFFF
	s_mul_i32 s82, s82, s71                                    // 000000005E88: 92524752
	s_mul_i32 s61, s60, s61                                    // 000000005E8C: 923D3D3C
	s_add_u32 s82, s82, s61                                    // 000000005E90: 80523D52
	v_mul_lo_u32 v6, v5, s82                                   // 000000005E94: D2850006 0000A505
	v_readlane_b32 s82, v3, 19                                 // 000000005E9C: D2890052 00012703
	s_lshr_b32 s61, s82, 24                                    // 000000005EA4: 8F3D9852
	s_and_b32 s82, s82, 0xffffff                               // 000000005EA8: 8652FF52 00FFFFFF
	s_mul_i32 s82, s82, s71                                    // 000000005EB0: 92524752
	s_mul_i32 s61, s60, s61                                    // 000000005EB4: 923D3D3C
	s_add_u32 s82, s82, s61                                    // 000000005EB8: 80523D52
	v_mul_lo_u32 v7, v4, s82                                   // 000000005EBC: D2850007 0000A504
	v_add_u32_e32 v63, v6, v7                                  // 000000005EC4: 687E0F06
	v_readlane_b32 s82, v3, 20                                 // 000000005EC8: D2890052 00012903
	s_lshr_b32 s61, s82, 24                                    // 000000005ED0: 8F3D9852
	s_and_b32 s82, s82, 0xffffff                               // 000000005ED4: 8652FF52 00FFFFFF
	s_mul_i32 s82, s82, s71                                    // 000000005EDC: 92524752
	s_mul_i32 s61, s60, s61                                    // 000000005EE0: 923D3D3C
	s_add_u32 s82, s82, s61                                    // 000000005EE4: 80523D52
	v_mul_lo_u32 v6, v5, s82                                   // 000000005EE8: D2850006 0000A505
	v_readlane_b32 s82, v3, 21                                 // 000000005EF0: D2890052 00012B03
	s_lshr_b32 s61, s82, 24                                    // 000000005EF8: 8F3D9852
	s_and_b32 s82, s82, 0xffffff                               // 000000005EFC: 8652FF52 00FFFFFF
	s_mul_i32 s82, s82, s71                                    // 000000005F04: 92524752
	s_mul_i32 s61, s60, s61                                    // 000000005F08: 923D3D3C
	s_add_u32 s82, s82, s61                                    // 000000005F0C: 80523D52
	v_mul_lo_u32 v7, v4, s82                                   // 000000005F10: D2850007 0000A504
	v_add_u32_e32 v64, v6, v7                                  // 000000005F18: 68800F06
	v_readlane_b32 s82, v3, 22                                 // 000000005F1C: D2890052 00012D03
	s_lshr_b32 s61, s82, 24                                    // 000000005F24: 8F3D9852
	s_and_b32 s82, s82, 0xffffff                               // 000000005F28: 8652FF52 00FFFFFF
	s_mul_i32 s82, s82, s71                                    // 000000005F30: 92524752
	s_mul_i32 s61, s60, s61                                    // 000000005F34: 923D3D3C
	s_add_u32 s82, s82, s61                                    // 000000005F38: 80523D52
	v_mul_lo_u32 v6, v5, s82                                   // 000000005F3C: D2850006 0000A505
	v_readlane_b32 s82, v3, 23                                 // 000000005F44: D2890052 00012F03
	s_lshr_b32 s61, s82, 24                                    // 000000005F4C: 8F3D9852
	s_and_b32 s82, s82, 0xffffff                               // 000000005F50: 8652FF52 00FFFFFF
	s_mul_i32 s82, s82, s71                                    // 000000005F58: 92524752
	s_mul_i32 s61, s60, s61                                    // 000000005F5C: 923D3D3C
	s_add_u32 s82, s82, s61                                    // 000000005F60: 80523D52
	v_mul_lo_u32 v7, v4, s82                                   // 000000005F64: D2850007 0000A504
	v_add_u32_e32 v65, v6, v7                                  // 000000005F6C: 68820F06
	v_and_b32_e32 v4, 31, v0                                   // 000000005F70: 2608009F
	v_lshrrev_b32_e32 v4, 1, v4                                // 000000005F74: 20080881
	s_cmp_eq_u32 s88, 0                                        // 000000005F78: BF068058
	s_cselect_b32 s61, 2, 4                                    // 000000005F7C: 853D8482
	v_mul_lo_u32 v4, v4, s61                                   // 000000005F80: D2850004 00007B04
	v_and_b32_e64 v5, v0, 1                                    // 000000005F88: D1130005 00010300
	v_add_u32_e32 v4, v4, v5                                   // 000000005F90: 68080B04
	v_lshlrev_b32_e32 v4, 2, v4                                // 000000005F94: 24080882
	v_add_u32_e32 v54, v54, v4                                 // 000000005F98: 686C0936
	v_add_u32_e32 v55, v55, v4                                 // 000000005F9C: 686E0937
	v_add_u32_e32 v56, v56, v4                                 // 000000005FA0: 68700938
	v_add_u32_e32 v57, v57, v4                                 // 000000005FA4: 68720939
	v_add_u32_e32 v58, v58, v4                                 // 000000005FA8: 6874093A
	v_add_u32_e32 v59, v59, v4                                 // 000000005FAC: 6876093B
	v_add_u32_e32 v60, v60, v4                                 // 000000005FB0: 6878093C
	v_add_u32_e32 v61, v61, v4                                 // 000000005FB4: 687A093D
	v_add_u32_e32 v62, v62, v4                                 // 000000005FB8: 687C093E
	v_add_u32_e32 v63, v63, v4                                 // 000000005FBC: 687E093F
	v_add_u32_e32 v64, v64, v4                                 // 000000005FC0: 68800940
	v_add_u32_e32 v65, v65, v4                                 // 000000005FC4: 68820941
	s_waitcnt lgkmcnt(0)                                       // 000000005FC8: BF8CC07F
	s_barrier                                                  // 000000005FCC: BF8A0000
	ds_read_b32 v68, v21                                       // 000000005FD0: D86C0000 44000015
	ds_read_b32 v69, v21 offset:64                             // 000000005FD8: D86C0040 45000015
	ds_read_b32 v72, v21 offset:2176                           // 000000005FE0: D86C0880 48000015
	ds_read_b32 v73, v21 offset:2240                           // 000000005FE8: D86C08C0 49000015
	ds_read_b32 v76, v21 offset:4352                           // 000000005FF0: D86C1100 4C000015
	ds_read_b32 v77, v21 offset:4416                           // 000000005FF8: D86C1140 4D000015
	ds_read_b32 v80, v21 offset:6528                           // 000000006000: D86C1980 50000015
	ds_read_b32 v81, v21 offset:6592                           // 000000006008: D86C19C0 51000015
	ds_read_b32 v84, v21 offset:8704                           // 000000006010: D86C2200 54000015
	ds_read_b32 v85, v21 offset:8768                           // 000000006018: D86C2240 55000015
	ds_read_b32 v88, v21 offset:10880                          // 000000006020: D86C2A80 58000015
	ds_read_b32 v89, v21 offset:10944                          // 000000006028: D86C2AC0 59000015
	s_waitcnt lgkmcnt(0)                                       // 000000006030: BF8CC07F
	s_mov_b32 s36, -1                                          // 000000006034: BEA400C1
	s_mov_b32 s37, -1                                          // 000000006038: BEA500C1
	v_mov_b32_e32 v7, 0                                        // 00000000603C: 7E0E0280
	s_mov_b64 exec, s[36:37]                                   // 000000006040: BEFE0124
	v_mov_b32_e32 v6, v54                                      // 000000006044: 7E0C0336
	s_mov_b64 s[60:61], 0                                      // 000000006048: BEBC0180
	v_readlane_b32 s82, v3, 0                                  // 00000000604C: D2890052 00010103
	s_and_b32 s82, s82, 0xffffff                               // 000000006054: 8652FF52 00FFFFFF
	s_cmp_lt_u32 s82, s66                                      // 00000000605C: BF0A4252
	s_cselect_b32 s20, s36, s60                                // 000000006060: 85143C24
	v_readlane_b32 s82, v3, 1                                  // 000000006064: D2890052 00010303
	s_and_b32 s82, s82, 0xffffff                               // 00000000606C: 8652FF52 00FFFFFF
	s_cmp_lt_u32 s82, s66                                      // 000000006074: BF0A4252
	s_cselect_b32 s21, s36, s60                                // 000000006078: 85153C24
	s_mov_b64 exec, s[20:21]                                   // 00000000607C: BEFE0114
	global_atomic_add_f32 v6, v68, s[8:9]                      // 000000006080: DD348000 00084406
	s_mov_b64 exec, s[36:37]                                   // 000000006088: BEFE0124
	v_mov_b32_e32 v6, v55                                      // 00000000608C: 7E0C0337
	s_mov_b64 s[60:61], 0                                      // 000000006090: BEBC0180
	v_readlane_b32 s82, v3, 2                                  // 000000006094: D2890052 00010503
	s_and_b32 s82, s82, 0xffffff                               // 00000000609C: 8652FF52 00FFFFFF
	s_cmp_lt_u32 s82, s66                                      // 0000000060A4: BF0A4252
	s_cselect_b32 s20, s36, s60                                // 0000000060A8: 85143C24
	v_readlane_b32 s82, v3, 3                                  // 0000000060AC: D2890052 00010703
	s_and_b32 s82, s82, 0xffffff                               // 0000000060B4: 8652FF52 00FFFFFF
	s_cmp_lt_u32 s82, s66                                      // 0000000060BC: BF0A4252
	s_cselect_b32 s21, s36, s60                                // 0000000060C0: 85153C24
	s_mov_b64 exec, s[20:21]                                   // 0000000060C4: BEFE0114
	global_atomic_add_f32 v6, v69, s[8:9]                      // 0000000060C8: DD348000 00084506
	s_mov_b64 exec, s[36:37]                                   // 0000000060D0: BEFE0124
	v_mov_b32_e32 v6, v56                                      // 0000000060D4: 7E0C0338
	s_mov_b64 s[60:61], 0                                      // 0000000060D8: BEBC0180
	v_readlane_b32 s82, v3, 4                                  // 0000000060DC: D2890052 00010903
	s_and_b32 s82, s82, 0xffffff                               // 0000000060E4: 8652FF52 00FFFFFF
	s_cmp_lt_u32 s82, s66                                      // 0000000060EC: BF0A4252
	s_cselect_b32 s20, s36, s60                                // 0000000060F0: 85143C24
	v_readlane_b32 s82, v3, 5                                  // 0000000060F4: D2890052 00010B03
	s_and_b32 s82, s82, 0xffffff                               // 0000000060FC: 8652FF52 00FFFFFF
	s_cmp_lt_u32 s82, s66                                      // 000000006104: BF0A4252
	s_cselect_b32 s21, s36, s60                                // 000000006108: 85153C24
	s_mov_b64 exec, s[20:21]                                   // 00000000610C: BEFE0114
	global_atomic_add_f32 v6, v72, s[8:9]                      // 000000006110: DD348000 00084806
	s_mov_b64 exec, s[36:37]                                   // 000000006118: BEFE0124
	v_mov_b32_e32 v6, v57                                      // 00000000611C: 7E0C0339
	s_mov_b64 s[60:61], 0                                      // 000000006120: BEBC0180
	v_readlane_b32 s82, v3, 6                                  // 000000006124: D2890052 00010D03
	s_and_b32 s82, s82, 0xffffff                               // 00000000612C: 8652FF52 00FFFFFF
	s_cmp_lt_u32 s82, s66                                      // 000000006134: BF0A4252
	s_cselect_b32 s20, s36, s60                                // 000000006138: 85143C24
	v_readlane_b32 s82, v3, 7                                  // 00000000613C: D2890052 00010F03
	s_and_b32 s82, s82, 0xffffff                               // 000000006144: 8652FF52 00FFFFFF
	s_cmp_lt_u32 s82, s66                                      // 00000000614C: BF0A4252
	s_cselect_b32 s21, s36, s60                                // 000000006150: 85153C24
	s_mov_b64 exec, s[20:21]                                   // 000000006154: BEFE0114
	global_atomic_add_f32 v6, v73, s[8:9]                      // 000000006158: DD348000 00084906
	s_mov_b64 exec, s[36:37]                                   // 000000006160: BEFE0124
	v_mov_b32_e32 v6, v58                                      // 000000006164: 7E0C033A
	s_mov_b64 s[60:61], 0                                      // 000000006168: BEBC0180
	v_readlane_b32 s82, v3, 8                                  // 00000000616C: D2890052 00011103
	s_and_b32 s82, s82, 0xffffff                               // 000000006174: 8652FF52 00FFFFFF
	s_cmp_lt_u32 s82, s66                                      // 00000000617C: BF0A4252
	s_cselect_b32 s20, s36, s60                                // 000000006180: 85143C24
	v_readlane_b32 s82, v3, 9                                  // 000000006184: D2890052 00011303
	s_and_b32 s82, s82, 0xffffff                               // 00000000618C: 8652FF52 00FFFFFF
	s_cmp_lt_u32 s82, s66                                      // 000000006194: BF0A4252
	s_cselect_b32 s21, s36, s60                                // 000000006198: 85153C24
	s_mov_b64 exec, s[20:21]                                   // 00000000619C: BEFE0114
	global_atomic_add_f32 v6, v76, s[8:9]                      // 0000000061A0: DD348000 00084C06
	s_mov_b64 exec, s[36:37]                                   // 0000000061A8: BEFE0124
	v_mov_b32_e32 v6, v59                                      // 0000000061AC: 7E0C033B
	s_mov_b64 s[60:61], 0                                      // 0000000061B0: BEBC0180
	v_readlane_b32 s82, v3, 10                                 // 0000000061B4: D2890052 00011503
	s_and_b32 s82, s82, 0xffffff                               // 0000000061BC: 8652FF52 00FFFFFF
	s_cmp_lt_u32 s82, s66                                      // 0000000061C4: BF0A4252
	s_cselect_b32 s20, s36, s60                                // 0000000061C8: 85143C24
	v_readlane_b32 s82, v3, 11                                 // 0000000061CC: D2890052 00011703
	s_and_b32 s82, s82, 0xffffff                               // 0000000061D4: 8652FF52 00FFFFFF
	s_cmp_lt_u32 s82, s66                                      // 0000000061DC: BF0A4252
	s_cselect_b32 s21, s36, s60                                // 0000000061E0: 85153C24
	s_mov_b64 exec, s[20:21]                                   // 0000000061E4: BEFE0114
	global_atomic_add_f32 v6, v77, s[8:9]                      // 0000000061E8: DD348000 00084D06
	s_mov_b64 exec, s[36:37]                                   // 0000000061F0: BEFE0124
	v_mov_b32_e32 v6, v60                                      // 0000000061F4: 7E0C033C
	s_mov_b64 s[60:61], 0                                      // 0000000061F8: BEBC0180
	v_readlane_b32 s82, v3, 12                                 // 0000000061FC: D2890052 00011903
	s_and_b32 s82, s82, 0xffffff                               // 000000006204: 8652FF52 00FFFFFF
	s_cmp_lt_u32 s82, s66                                      // 00000000620C: BF0A4252
	s_cselect_b32 s20, s36, s60                                // 000000006210: 85143C24
	v_readlane_b32 s82, v3, 13                                 // 000000006214: D2890052 00011B03
	s_and_b32 s82, s82, 0xffffff                               // 00000000621C: 8652FF52 00FFFFFF
	s_cmp_lt_u32 s82, s66                                      // 000000006224: BF0A4252
	s_cselect_b32 s21, s36, s60                                // 000000006228: 85153C24
	s_mov_b64 exec, s[20:21]                                   // 00000000622C: BEFE0114
	global_atomic_add_f32 v6, v80, s[8:9]                      // 000000006230: DD348000 00085006
	s_mov_b64 exec, s[36:37]                                   // 000000006238: BEFE0124
	v_mov_b32_e32 v6, v61                                      // 00000000623C: 7E0C033D
	s_mov_b64 s[60:61], 0                                      // 000000006240: BEBC0180
	v_readlane_b32 s82, v3, 14                                 // 000000006244: D2890052 00011D03
	s_and_b32 s82, s82, 0xffffff                               // 00000000624C: 8652FF52 00FFFFFF
	s_cmp_lt_u32 s82, s66                                      // 000000006254: BF0A4252
	s_cselect_b32 s20, s36, s60                                // 000000006258: 85143C24
	v_readlane_b32 s82, v3, 15                                 // 00000000625C: D2890052 00011F03
	s_and_b32 s82, s82, 0xffffff                               // 000000006264: 8652FF52 00FFFFFF
	s_cmp_lt_u32 s82, s66                                      // 00000000626C: BF0A4252
	s_cselect_b32 s21, s36, s60                                // 000000006270: 85153C24
	s_mov_b64 exec, s[20:21]                                   // 000000006274: BEFE0114
	global_atomic_add_f32 v6, v81, s[8:9]                      // 000000006278: DD348000 00085106
	s_mov_b64 exec, s[36:37]                                   // 000000006280: BEFE0124
	v_mov_b32_e32 v6, v62                                      // 000000006284: 7E0C033E
	s_mov_b64 s[60:61], 0                                      // 000000006288: BEBC0180
	v_readlane_b32 s82, v3, 16                                 // 00000000628C: D2890052 00012103
	s_and_b32 s82, s82, 0xffffff                               // 000000006294: 8652FF52 00FFFFFF
	s_cmp_lt_u32 s82, s66                                      // 00000000629C: BF0A4252
	s_cselect_b32 s20, s36, s60                                // 0000000062A0: 85143C24
	v_readlane_b32 s82, v3, 17                                 // 0000000062A4: D2890052 00012303
	s_and_b32 s82, s82, 0xffffff                               // 0000000062AC: 8652FF52 00FFFFFF
	s_cmp_lt_u32 s82, s66                                      // 0000000062B4: BF0A4252
	s_cselect_b32 s21, s36, s60                                // 0000000062B8: 85153C24
	s_mov_b64 exec, s[20:21]                                   // 0000000062BC: BEFE0114
	global_atomic_add_f32 v6, v84, s[8:9]                      // 0000000062C0: DD348000 00085406
	s_mov_b64 exec, s[36:37]                                   // 0000000062C8: BEFE0124
	v_mov_b32_e32 v6, v63                                      // 0000000062CC: 7E0C033F
	s_mov_b64 s[60:61], 0                                      // 0000000062D0: BEBC0180
	v_readlane_b32 s82, v3, 18                                 // 0000000062D4: D2890052 00012503
	s_and_b32 s82, s82, 0xffffff                               // 0000000062DC: 8652FF52 00FFFFFF
	s_cmp_lt_u32 s82, s66                                      // 0000000062E4: BF0A4252
	s_cselect_b32 s20, s36, s60                                // 0000000062E8: 85143C24
	v_readlane_b32 s82, v3, 19                                 // 0000000062EC: D2890052 00012703
	s_and_b32 s82, s82, 0xffffff                               // 0000000062F4: 8652FF52 00FFFFFF
	s_cmp_lt_u32 s82, s66                                      // 0000000062FC: BF0A4252
	s_cselect_b32 s21, s36, s60                                // 000000006300: 85153C24
	s_mov_b64 exec, s[20:21]                                   // 000000006304: BEFE0114
	global_atomic_add_f32 v6, v85, s[8:9]                      // 000000006308: DD348000 00085506
	s_mov_b64 exec, s[36:37]                                   // 000000006310: BEFE0124
	v_mov_b32_e32 v6, v64                                      // 000000006314: 7E0C0340
	s_mov_b64 s[60:61], 0                                      // 000000006318: BEBC0180
	v_readlane_b32 s82, v3, 20                                 // 00000000631C: D2890052 00012903
	s_and_b32 s82, s82, 0xffffff                               // 000000006324: 8652FF52 00FFFFFF
	s_cmp_lt_u32 s82, s66                                      // 00000000632C: BF0A4252
	s_cselect_b32 s20, s36, s60                                // 000000006330: 85143C24
	v_readlane_b32 s82, v3, 21                                 // 000000006334: D2890052 00012B03
	s_and_b32 s82, s82, 0xffffff                               // 00000000633C: 8652FF52 00FFFFFF
	s_cmp_lt_u32 s82, s66                                      // 000000006344: BF0A4252
	s_cselect_b32 s21, s36, s60                                // 000000006348: 85153C24
	s_mov_b64 exec, s[20:21]                                   // 00000000634C: BEFE0114
	global_atomic_add_f32 v6, v88, s[8:9]                      // 000000006350: DD348000 00085806
	s_mov_b64 exec, s[36:37]                                   // 000000006358: BEFE0124
	v_mov_b32_e32 v6, v65                                      // 00000000635C: 7E0C0341
	s_mov_b64 s[60:61], 0                                      // 000000006360: BEBC0180
	v_readlane_b32 s82, v3, 22                                 // 000000006364: D2890052 00012D03
	s_and_b32 s82, s82, 0xffffff                               // 00000000636C: 8652FF52 00FFFFFF
	s_cmp_lt_u32 s82, s66                                      // 000000006374: BF0A4252
	s_cselect_b32 s20, s36, s60                                // 000000006378: 85143C24
	v_readlane_b32 s82, v3, 23                                 // 00000000637C: D2890052 00012F03
	s_and_b32 s82, s82, 0xffffff                               // 000000006384: 8652FF52 00FFFFFF
	s_cmp_lt_u32 s82, s66                                      // 00000000638C: BF0A4252
	s_cselect_b32 s21, s36, s60                                // 000000006390: 85153C24
	s_mov_b64 exec, s[20:21]                                   // 000000006394: BEFE0114
	global_atomic_add_f32 v6, v89, s[8:9]                      // 000000006398: DD348000 00085906
	s_mov_b64 exec, s[36:37]                                   // 0000000063A0: BEFE0124
	ds_write_b64 v20, v[70:71]                                 // 0000000063A4: D89A0000 00004614
	ds_write_b64 v20, v[74:75] offset:2176                     // 0000000063AC: D89A0880 00004A14
	ds_write_b64 v20, v[78:79] offset:4352                     // 0000000063B4: D89A1100 00004E14
	ds_write_b64 v20, v[82:83] offset:6528                     // 0000000063BC: D89A1980 00005214
	ds_write_b64 v20, v[86:87] offset:8704                     // 0000000063C4: D89A2200 00005614
	ds_write_b64 v20, v[90:91] offset:10880                    // 0000000063CC: D89A2A80 00005A14
	s_waitcnt lgkmcnt(0)                                       // 0000000063D4: BF8CC07F
	s_barrier                                                  // 0000000063D8: BF8A0000
	ds_read_b32 v70, v21                                       // 0000000063DC: D86C0000 46000015
	ds_read_b32 v71, v21 offset:64                             // 0000000063E4: D86C0040 47000015
	ds_read_b32 v74, v21 offset:2176                           // 0000000063EC: D86C0880 4A000015
	ds_read_b32 v75, v21 offset:2240                           // 0000000063F4: D86C08C0 4B000015
	ds_read_b32 v78, v21 offset:4352                           // 0000000063FC: D86C1100 4E000015
	ds_read_b32 v79, v21 offset:4416                           // 000000006404: D86C1140 4F000015
	ds_read_b32 v82, v21 offset:6528                           // 00000000640C: D86C1980 52000015
	ds_read_b32 v83, v21 offset:6592                           // 000000006414: D86C19C0 53000015
	ds_read_b32 v86, v21 offset:8704                           // 00000000641C: D86C2200 56000015
	ds_read_b32 v87, v21 offset:8768                           // 000000006424: D86C2240 57000015
	ds_read_b32 v90, v21 offset:10880                          // 00000000642C: D86C2A80 5A000015
	ds_read_b32 v91, v21 offset:10944                          // 000000006434: D86C2AC0 5B000015
	s_waitcnt lgkmcnt(0)                                       // 00000000643C: BF8CC07F
	v_mov_b32_e32 v7, 0                                        // 000000006440: 7E0E0280
	s_mov_b64 exec, s[36:37]                                   // 000000006444: BEFE0124
	v_mov_b32_e32 v6, v54                                      // 000000006448: 7E0C0336
	s_mov_b64 s[60:61], 0                                      // 00000000644C: BEBC0180
	v_readlane_b32 s82, v3, 0                                  // 000000006450: D2890052 00010103
	s_and_b32 s82, s82, 0xffffff                               // 000000006458: 8652FF52 00FFFFFF
	s_cmp_lt_u32 s82, s66                                      // 000000006460: BF0A4252
	s_cselect_b32 s20, s36, s60                                // 000000006464: 85143C24
	v_readlane_b32 s82, v3, 1                                  // 000000006468: D2890052 00010303
	s_and_b32 s82, s82, 0xffffff                               // 000000006470: 8652FF52 00FFFFFF
	s_cmp_lt_u32 s82, s66                                      // 000000006478: BF0A4252
	s_cselect_b32 s21, s36, s60                                // 00000000647C: 85153C24
	s_mov_b64 exec, s[20:21]                                   // 000000006480: BEFE0114
	global_atomic_add_f32 v6, v70, s[8:9] offset:8             // 000000006484: DD348008 00084606
	s_mov_b64 exec, s[36:37]                                   // 00000000648C: BEFE0124
	v_mov_b32_e32 v6, v55                                      // 000000006490: 7E0C0337
	s_mov_b64 s[60:61], 0                                      // 000000006494: BEBC0180
	v_readlane_b32 s82, v3, 2                                  // 000000006498: D2890052 00010503
	s_and_b32 s82, s82, 0xffffff                               // 0000000064A0: 8652FF52 00FFFFFF
	s_cmp_lt_u32 s82, s66                                      // 0000000064A8: BF0A4252
	s_cselect_b32 s20, s36, s60                                // 0000000064AC: 85143C24
	v_readlane_b32 s82, v3, 3                                  // 0000000064B0: D2890052 00010703
	s_and_b32 s82, s82, 0xffffff                               // 0000000064B8: 8652FF52 00FFFFFF
	s_cmp_lt_u32 s82, s66                                      // 0000000064C0: BF0A4252
	s_cselect_b32 s21, s36, s60                                // 0000000064C4: 85153C24
	s_mov_b64 exec, s[20:21]                                   // 0000000064C8: BEFE0114
	global_atomic_add_f32 v6, v71, s[8:9] offset:8             // 0000000064CC: DD348008 00084706
	s_mov_b64 exec, s[36:37]                                   // 0000000064D4: BEFE0124
	v_mov_b32_e32 v6, v56                                      // 0000000064D8: 7E0C0338
	s_mov_b64 s[60:61], 0                                      // 0000000064DC: BEBC0180
	v_readlane_b32 s82, v3, 4                                  // 0000000064E0: D2890052 00010903
	s_and_b32 s82, s82, 0xffffff                               // 0000000064E8: 8652FF52 00FFFFFF
	s_cmp_lt_u32 s82, s66                                      // 0000000064F0: BF0A4252
	s_cselect_b32 s20, s36, s60                                // 0000000064F4: 85143C24
	v_readlane_b32 s82, v3, 5                                  // 0000000064F8: D2890052 00010B03
	s_and_b32 s82, s82, 0xffffff                               // 000000006500: 8652FF52 00FFFFFF
	s_cmp_lt_u32 s82, s66                                      // 000000006508: BF0A4252
	s_cselect_b32 s21, s36, s60                                // 00000000650C: 85153C24
	s_mov_b64 exec, s[20:21]                                   // 000000006510: BEFE0114
	global_atomic_add_f32 v6, v74, s[8:9] offset:8             // 000000006514: DD348008 00084A06
	s_mov_b64 exec, s[36:37]                                   // 00000000651C: BEFE0124
	v_mov_b32_e32 v6, v57                                      // 000000006520: 7E0C0339
	s_mov_b64 s[60:61], 0                                      // 000000006524: BEBC0180
	v_readlane_b32 s82, v3, 6                                  // 000000006528: D2890052 00010D03
	s_and_b32 s82, s82, 0xffffff                               // 000000006530: 8652FF52 00FFFFFF
	s_cmp_lt_u32 s82, s66                                      // 000000006538: BF0A4252
	s_cselect_b32 s20, s36, s60                                // 00000000653C: 85143C24
	v_readlane_b32 s82, v3, 7                                  // 000000006540: D2890052 00010F03
	s_and_b32 s82, s82, 0xffffff                               // 000000006548: 8652FF52 00FFFFFF
	s_cmp_lt_u32 s82, s66                                      // 000000006550: BF0A4252
	s_cselect_b32 s21, s36, s60                                // 000000006554: 85153C24
	s_mov_b64 exec, s[20:21]                                   // 000000006558: BEFE0114
	global_atomic_add_f32 v6, v75, s[8:9] offset:8             // 00000000655C: DD348008 00084B06
	s_mov_b64 exec, s[36:37]                                   // 000000006564: BEFE0124
	v_mov_b32_e32 v6, v58                                      // 000000006568: 7E0C033A
	s_mov_b64 s[60:61], 0                                      // 00000000656C: BEBC0180
	v_readlane_b32 s82, v3, 8                                  // 000000006570: D2890052 00011103
	s_and_b32 s82, s82, 0xffffff                               // 000000006578: 8652FF52 00FFFFFF
	s_cmp_lt_u32 s82, s66                                      // 000000006580: BF0A4252
	s_cselect_b32 s20, s36, s60                                // 000000006584: 85143C24
	v_readlane_b32 s82, v3, 9                                  // 000000006588: D2890052 00011303
	s_and_b32 s82, s82, 0xffffff                               // 000000006590: 8652FF52 00FFFFFF
	s_cmp_lt_u32 s82, s66                                      // 000000006598: BF0A4252
	s_cselect_b32 s21, s36, s60                                // 00000000659C: 85153C24
	s_mov_b64 exec, s[20:21]                                   // 0000000065A0: BEFE0114
	global_atomic_add_f32 v6, v78, s[8:9] offset:8             // 0000000065A4: DD348008 00084E06
	s_mov_b64 exec, s[36:37]                                   // 0000000065AC: BEFE0124
	v_mov_b32_e32 v6, v59                                      // 0000000065B0: 7E0C033B
	s_mov_b64 s[60:61], 0                                      // 0000000065B4: BEBC0180
	v_readlane_b32 s82, v3, 10                                 // 0000000065B8: D2890052 00011503
	s_and_b32 s82, s82, 0xffffff                               // 0000000065C0: 8652FF52 00FFFFFF
	s_cmp_lt_u32 s82, s66                                      // 0000000065C8: BF0A4252
	s_cselect_b32 s20, s36, s60                                // 0000000065CC: 85143C24
	v_readlane_b32 s82, v3, 11                                 // 0000000065D0: D2890052 00011703
	s_and_b32 s82, s82, 0xffffff                               // 0000000065D8: 8652FF52 00FFFFFF
	s_cmp_lt_u32 s82, s66                                      // 0000000065E0: BF0A4252
	s_cselect_b32 s21, s36, s60                                // 0000000065E4: 85153C24
	s_mov_b64 exec, s[20:21]                                   // 0000000065E8: BEFE0114
	global_atomic_add_f32 v6, v79, s[8:9] offset:8             // 0000000065EC: DD348008 00084F06
	s_mov_b64 exec, s[36:37]                                   // 0000000065F4: BEFE0124
	v_mov_b32_e32 v6, v60                                      // 0000000065F8: 7E0C033C
	s_mov_b64 s[60:61], 0                                      // 0000000065FC: BEBC0180
	v_readlane_b32 s82, v3, 12                                 // 000000006600: D2890052 00011903
	s_and_b32 s82, s82, 0xffffff                               // 000000006608: 8652FF52 00FFFFFF
	s_cmp_lt_u32 s82, s66                                      // 000000006610: BF0A4252
	s_cselect_b32 s20, s36, s60                                // 000000006614: 85143C24
	v_readlane_b32 s82, v3, 13                                 // 000000006618: D2890052 00011B03
	s_and_b32 s82, s82, 0xffffff                               // 000000006620: 8652FF52 00FFFFFF
	s_cmp_lt_u32 s82, s66                                      // 000000006628: BF0A4252
	s_cselect_b32 s21, s36, s60                                // 00000000662C: 85153C24
	s_mov_b64 exec, s[20:21]                                   // 000000006630: BEFE0114
	global_atomic_add_f32 v6, v82, s[8:9] offset:8             // 000000006634: DD348008 00085206
	s_mov_b64 exec, s[36:37]                                   // 00000000663C: BEFE0124
	v_mov_b32_e32 v6, v61                                      // 000000006640: 7E0C033D
	s_mov_b64 s[60:61], 0                                      // 000000006644: BEBC0180
	v_readlane_b32 s82, v3, 14                                 // 000000006648: D2890052 00011D03
	s_and_b32 s82, s82, 0xffffff                               // 000000006650: 8652FF52 00FFFFFF
	s_cmp_lt_u32 s82, s66                                      // 000000006658: BF0A4252
	s_cselect_b32 s20, s36, s60                                // 00000000665C: 85143C24
	v_readlane_b32 s82, v3, 15                                 // 000000006660: D2890052 00011F03
	s_and_b32 s82, s82, 0xffffff                               // 000000006668: 8652FF52 00FFFFFF
	s_cmp_lt_u32 s82, s66                                      // 000000006670: BF0A4252
	s_cselect_b32 s21, s36, s60                                // 000000006674: 85153C24
	s_mov_b64 exec, s[20:21]                                   // 000000006678: BEFE0114
	global_atomic_add_f32 v6, v83, s[8:9] offset:8             // 00000000667C: DD348008 00085306
	s_mov_b64 exec, s[36:37]                                   // 000000006684: BEFE0124
	v_mov_b32_e32 v6, v62                                      // 000000006688: 7E0C033E
	s_mov_b64 s[60:61], 0                                      // 00000000668C: BEBC0180
	v_readlane_b32 s82, v3, 16                                 // 000000006690: D2890052 00012103
	s_and_b32 s82, s82, 0xffffff                               // 000000006698: 8652FF52 00FFFFFF
	s_cmp_lt_u32 s82, s66                                      // 0000000066A0: BF0A4252
	s_cselect_b32 s20, s36, s60                                // 0000000066A4: 85143C24
	v_readlane_b32 s82, v3, 17                                 // 0000000066A8: D2890052 00012303
	s_and_b32 s82, s82, 0xffffff                               // 0000000066B0: 8652FF52 00FFFFFF
	s_cmp_lt_u32 s82, s66                                      // 0000000066B8: BF0A4252
	s_cselect_b32 s21, s36, s60                                // 0000000066BC: 85153C24
	s_mov_b64 exec, s[20:21]                                   // 0000000066C0: BEFE0114
	global_atomic_add_f32 v6, v86, s[8:9] offset:8             // 0000000066C4: DD348008 00085606
	s_mov_b64 exec, s[36:37]                                   // 0000000066CC: BEFE0124
	v_mov_b32_e32 v6, v63                                      // 0000000066D0: 7E0C033F
	s_mov_b64 s[60:61], 0                                      // 0000000066D4: BEBC0180
	v_readlane_b32 s82, v3, 18                                 // 0000000066D8: D2890052 00012503
	s_and_b32 s82, s82, 0xffffff                               // 0000000066E0: 8652FF52 00FFFFFF
	s_cmp_lt_u32 s82, s66                                      // 0000000066E8: BF0A4252
	s_cselect_b32 s20, s36, s60                                // 0000000066EC: 85143C24
	v_readlane_b32 s82, v3, 19                                 // 0000000066F0: D2890052 00012703
	s_and_b32 s82, s82, 0xffffff                               // 0000000066F8: 8652FF52 00FFFFFF
	s_cmp_lt_u32 s82, s66                                      // 000000006700: BF0A4252
	s_cselect_b32 s21, s36, s60                                // 000000006704: 85153C24
	s_mov_b64 exec, s[20:21]                                   // 000000006708: BEFE0114
	global_atomic_add_f32 v6, v87, s[8:9] offset:8             // 00000000670C: DD348008 00085706
	s_mov_b64 exec, s[36:37]                                   // 000000006714: BEFE0124
	v_mov_b32_e32 v6, v64                                      // 000000006718: 7E0C0340
	s_mov_b64 s[60:61], 0                                      // 00000000671C: BEBC0180
	v_readlane_b32 s82, v3, 20                                 // 000000006720: D2890052 00012903
	s_and_b32 s82, s82, 0xffffff                               // 000000006728: 8652FF52 00FFFFFF
	s_cmp_lt_u32 s82, s66                                      // 000000006730: BF0A4252
	s_cselect_b32 s20, s36, s60                                // 000000006734: 85143C24
	v_readlane_b32 s82, v3, 21                                 // 000000006738: D2890052 00012B03
	s_and_b32 s82, s82, 0xffffff                               // 000000006740: 8652FF52 00FFFFFF
	s_cmp_lt_u32 s82, s66                                      // 000000006748: BF0A4252
	s_cselect_b32 s21, s36, s60                                // 00000000674C: 85153C24
	s_mov_b64 exec, s[20:21]                                   // 000000006750: BEFE0114
	global_atomic_add_f32 v6, v90, s[8:9] offset:8             // 000000006754: DD348008 00085A06
	s_mov_b64 exec, s[36:37]                                   // 00000000675C: BEFE0124
	v_mov_b32_e32 v6, v65                                      // 000000006760: 7E0C0341
	s_mov_b64 s[60:61], 0                                      // 000000006764: BEBC0180
	v_readlane_b32 s82, v3, 22                                 // 000000006768: D2890052 00012D03
	s_and_b32 s82, s82, 0xffffff                               // 000000006770: 8652FF52 00FFFFFF
	s_cmp_lt_u32 s82, s66                                      // 000000006778: BF0A4252
	s_cselect_b32 s20, s36, s60                                // 00000000677C: 85143C24
	v_readlane_b32 s82, v3, 23                                 // 000000006780: D2890052 00012F03
	s_and_b32 s82, s82, 0xffffff                               // 000000006788: 8652FF52 00FFFFFF
	s_cmp_lt_u32 s82, s66                                      // 000000006790: BF0A4252
	s_cselect_b32 s21, s36, s60                                // 000000006794: 85153C24
	s_mov_b64 exec, s[20:21]                                   // 000000006798: BEFE0114
	global_atomic_add_f32 v6, v91, s[8:9] offset:8             // 00000000679C: DD348008 00085B06
	s_mov_b64 exec, s[36:37]                                   // 0000000067A4: BEFE0124
	ds_write_b64 v20, v[92:93]                                 // 0000000067A8: D89A0000 00005C14
	ds_write_b64 v20, v[96:97] offset:2176                     // 0000000067B0: D89A0880 00006014
	ds_write_b64 v20, v[100:101] offset:4352                   // 0000000067B8: D89A1100 00006414
	ds_write_b64 v20, v[104:105] offset:6528                   // 0000000067C0: D89A1980 00006814
	ds_write_b64 v20, v[108:109] offset:8704                   // 0000000067C8: D89A2200 00006C14
	ds_write_b64 v20, v[112:113] offset:10880                  // 0000000067D0: D89A2A80 00007014
	s_waitcnt lgkmcnt(0)                                       // 0000000067D8: BF8CC07F
	s_barrier                                                  // 0000000067DC: BF8A0000
	ds_read_b32 v92, v21                                       // 0000000067E0: D86C0000 5C000015
	ds_read_b32 v93, v21 offset:64                             // 0000000067E8: D86C0040 5D000015
	ds_read_b32 v96, v21 offset:2176                           // 0000000067F0: D86C0880 60000015
	ds_read_b32 v97, v21 offset:2240                           // 0000000067F8: D86C08C0 61000015
	ds_read_b32 v100, v21 offset:4352                          // 000000006800: D86C1100 64000015
	ds_read_b32 v101, v21 offset:4416                          // 000000006808: D86C1140 65000015
	ds_read_b32 v104, v21 offset:6528                          // 000000006810: D86C1980 68000015
	ds_read_b32 v105, v21 offset:6592                          // 000000006818: D86C19C0 69000015
	ds_read_b32 v108, v21 offset:8704                          // 000000006820: D86C2200 6C000015
	ds_read_b32 v109, v21 offset:8768                          // 000000006828: D86C2240 6D000015
	ds_read_b32 v112, v21 offset:10880                         // 000000006830: D86C2A80 70000015
	ds_read_b32 v113, v21 offset:10944                         // 000000006838: D86C2AC0 71000015
	s_mul_i32 s60, s65, 4                                      // 000000006840: 923C8441
	s_add_u32 s8, s60, s8                                      // 000000006844: 8008083C
	s_addc_u32 s9, 0, s9                                       // 000000006848: 82090980
	s_waitcnt lgkmcnt(0)                                       // 00000000684C: BF8CC07F
	v_mov_b32_e32 v7, 0                                        // 000000006850: 7E0E0280
	s_mov_b64 exec, s[36:37]                                   // 000000006854: BEFE0124
	v_mov_b32_e32 v6, v54                                      // 000000006858: 7E0C0336
	s_mov_b64 s[60:61], 0                                      // 00000000685C: BEBC0180
	v_readlane_b32 s82, v3, 0                                  // 000000006860: D2890052 00010103
	s_and_b32 s82, s82, 0xffffff                               // 000000006868: 8652FF52 00FFFFFF
	s_cmp_lt_u32 s82, s66                                      // 000000006870: BF0A4252
	s_cselect_b32 s20, s36, s60                                // 000000006874: 85143C24
	v_readlane_b32 s82, v3, 1                                  // 000000006878: D2890052 00010303
	s_and_b32 s82, s82, 0xffffff                               // 000000006880: 8652FF52 00FFFFFF
	s_cmp_lt_u32 s82, s66                                      // 000000006888: BF0A4252
	s_cselect_b32 s21, s36, s60                                // 00000000688C: 85153C24
	s_mov_b64 exec, s[20:21]                                   // 000000006890: BEFE0114
	global_atomic_add_f32 v6, v92, s[8:9]                      // 000000006894: DD348000 00085C06
	s_mov_b64 exec, s[36:37]                                   // 00000000689C: BEFE0124
	v_mov_b32_e32 v6, v55                                      // 0000000068A0: 7E0C0337
	s_mov_b64 s[60:61], 0                                      // 0000000068A4: BEBC0180
	v_readlane_b32 s82, v3, 2                                  // 0000000068A8: D2890052 00010503
	s_and_b32 s82, s82, 0xffffff                               // 0000000068B0: 8652FF52 00FFFFFF
	s_cmp_lt_u32 s82, s66                                      // 0000000068B8: BF0A4252
	s_cselect_b32 s20, s36, s60                                // 0000000068BC: 85143C24
	v_readlane_b32 s82, v3, 3                                  // 0000000068C0: D2890052 00010703
	s_and_b32 s82, s82, 0xffffff                               // 0000000068C8: 8652FF52 00FFFFFF
	s_cmp_lt_u32 s82, s66                                      // 0000000068D0: BF0A4252
	s_cselect_b32 s21, s36, s60                                // 0000000068D4: 85153C24
	s_mov_b64 exec, s[20:21]                                   // 0000000068D8: BEFE0114
	global_atomic_add_f32 v6, v93, s[8:9]                      // 0000000068DC: DD348000 00085D06
	s_mov_b64 exec, s[36:37]                                   // 0000000068E4: BEFE0124
	v_mov_b32_e32 v6, v56                                      // 0000000068E8: 7E0C0338
	s_mov_b64 s[60:61], 0                                      // 0000000068EC: BEBC0180
	v_readlane_b32 s82, v3, 4                                  // 0000000068F0: D2890052 00010903
	s_and_b32 s82, s82, 0xffffff                               // 0000000068F8: 8652FF52 00FFFFFF
	s_cmp_lt_u32 s82, s66                                      // 000000006900: BF0A4252
	s_cselect_b32 s20, s36, s60                                // 000000006904: 85143C24
	v_readlane_b32 s82, v3, 5                                  // 000000006908: D2890052 00010B03
	s_and_b32 s82, s82, 0xffffff                               // 000000006910: 8652FF52 00FFFFFF
	s_cmp_lt_u32 s82, s66                                      // 000000006918: BF0A4252
	s_cselect_b32 s21, s36, s60                                // 00000000691C: 85153C24
	s_mov_b64 exec, s[20:21]                                   // 000000006920: BEFE0114
	global_atomic_add_f32 v6, v96, s[8:9]                      // 000000006924: DD348000 00086006
	s_mov_b64 exec, s[36:37]                                   // 00000000692C: BEFE0124
	v_mov_b32_e32 v6, v57                                      // 000000006930: 7E0C0339
	s_mov_b64 s[60:61], 0                                      // 000000006934: BEBC0180
	v_readlane_b32 s82, v3, 6                                  // 000000006938: D2890052 00010D03
	s_and_b32 s82, s82, 0xffffff                               // 000000006940: 8652FF52 00FFFFFF
	s_cmp_lt_u32 s82, s66                                      // 000000006948: BF0A4252
	s_cselect_b32 s20, s36, s60                                // 00000000694C: 85143C24
	v_readlane_b32 s82, v3, 7                                  // 000000006950: D2890052 00010F03
	s_and_b32 s82, s82, 0xffffff                               // 000000006958: 8652FF52 00FFFFFF
	s_cmp_lt_u32 s82, s66                                      // 000000006960: BF0A4252
	s_cselect_b32 s21, s36, s60                                // 000000006964: 85153C24
	s_mov_b64 exec, s[20:21]                                   // 000000006968: BEFE0114
	global_atomic_add_f32 v6, v97, s[8:9]                      // 00000000696C: DD348000 00086106
	s_mov_b64 exec, s[36:37]                                   // 000000006974: BEFE0124
	v_mov_b32_e32 v6, v58                                      // 000000006978: 7E0C033A
	s_mov_b64 s[60:61], 0                                      // 00000000697C: BEBC0180
	v_readlane_b32 s82, v3, 8                                  // 000000006980: D2890052 00011103
	s_and_b32 s82, s82, 0xffffff                               // 000000006988: 8652FF52 00FFFFFF
	s_cmp_lt_u32 s82, s66                                      // 000000006990: BF0A4252
	s_cselect_b32 s20, s36, s60                                // 000000006994: 85143C24
	v_readlane_b32 s82, v3, 9                                  // 000000006998: D2890052 00011303
	s_and_b32 s82, s82, 0xffffff                               // 0000000069A0: 8652FF52 00FFFFFF
	s_cmp_lt_u32 s82, s66                                      // 0000000069A8: BF0A4252
	s_cselect_b32 s21, s36, s60                                // 0000000069AC: 85153C24
	s_mov_b64 exec, s[20:21]                                   // 0000000069B0: BEFE0114
	global_atomic_add_f32 v6, v100, s[8:9]                     // 0000000069B4: DD348000 00086406
	s_mov_b64 exec, s[36:37]                                   // 0000000069BC: BEFE0124
	v_mov_b32_e32 v6, v59                                      // 0000000069C0: 7E0C033B
	s_mov_b64 s[60:61], 0                                      // 0000000069C4: BEBC0180
	v_readlane_b32 s82, v3, 10                                 // 0000000069C8: D2890052 00011503
	s_and_b32 s82, s82, 0xffffff                               // 0000000069D0: 8652FF52 00FFFFFF
	s_cmp_lt_u32 s82, s66                                      // 0000000069D8: BF0A4252
	s_cselect_b32 s20, s36, s60                                // 0000000069DC: 85143C24
	v_readlane_b32 s82, v3, 11                                 // 0000000069E0: D2890052 00011703
	s_and_b32 s82, s82, 0xffffff                               // 0000000069E8: 8652FF52 00FFFFFF
	s_cmp_lt_u32 s82, s66                                      // 0000000069F0: BF0A4252
	s_cselect_b32 s21, s36, s60                                // 0000000069F4: 85153C24
	s_mov_b64 exec, s[20:21]                                   // 0000000069F8: BEFE0114
	global_atomic_add_f32 v6, v101, s[8:9]                     // 0000000069FC: DD348000 00086506
	s_mov_b64 exec, s[36:37]                                   // 000000006A04: BEFE0124
	v_mov_b32_e32 v6, v60                                      // 000000006A08: 7E0C033C
	s_mov_b64 s[60:61], 0                                      // 000000006A0C: BEBC0180
	v_readlane_b32 s82, v3, 12                                 // 000000006A10: D2890052 00011903
	s_and_b32 s82, s82, 0xffffff                               // 000000006A18: 8652FF52 00FFFFFF
	s_cmp_lt_u32 s82, s66                                      // 000000006A20: BF0A4252
	s_cselect_b32 s20, s36, s60                                // 000000006A24: 85143C24
	v_readlane_b32 s82, v3, 13                                 // 000000006A28: D2890052 00011B03
	s_and_b32 s82, s82, 0xffffff                               // 000000006A30: 8652FF52 00FFFFFF
	s_cmp_lt_u32 s82, s66                                      // 000000006A38: BF0A4252
	s_cselect_b32 s21, s36, s60                                // 000000006A3C: 85153C24
	s_mov_b64 exec, s[20:21]                                   // 000000006A40: BEFE0114
	global_atomic_add_f32 v6, v104, s[8:9]                     // 000000006A44: DD348000 00086806
	s_mov_b64 exec, s[36:37]                                   // 000000006A4C: BEFE0124
	v_mov_b32_e32 v6, v61                                      // 000000006A50: 7E0C033D
	s_mov_b64 s[60:61], 0                                      // 000000006A54: BEBC0180
	v_readlane_b32 s82, v3, 14                                 // 000000006A58: D2890052 00011D03
	s_and_b32 s82, s82, 0xffffff                               // 000000006A60: 8652FF52 00FFFFFF
	s_cmp_lt_u32 s82, s66                                      // 000000006A68: BF0A4252
	s_cselect_b32 s20, s36, s60                                // 000000006A6C: 85143C24
	v_readlane_b32 s82, v3, 15                                 // 000000006A70: D2890052 00011F03
	s_and_b32 s82, s82, 0xffffff                               // 000000006A78: 8652FF52 00FFFFFF
	s_cmp_lt_u32 s82, s66                                      // 000000006A80: BF0A4252
	s_cselect_b32 s21, s36, s60                                // 000000006A84: 85153C24
	s_mov_b64 exec, s[20:21]                                   // 000000006A88: BEFE0114
	global_atomic_add_f32 v6, v105, s[8:9]                     // 000000006A8C: DD348000 00086906
	s_mov_b64 exec, s[36:37]                                   // 000000006A94: BEFE0124
	v_mov_b32_e32 v6, v62                                      // 000000006A98: 7E0C033E
	s_mov_b64 s[60:61], 0                                      // 000000006A9C: BEBC0180
	v_readlane_b32 s82, v3, 16                                 // 000000006AA0: D2890052 00012103
	s_and_b32 s82, s82, 0xffffff                               // 000000006AA8: 8652FF52 00FFFFFF
	s_cmp_lt_u32 s82, s66                                      // 000000006AB0: BF0A4252
	s_cselect_b32 s20, s36, s60                                // 000000006AB4: 85143C24
	v_readlane_b32 s82, v3, 17                                 // 000000006AB8: D2890052 00012303
	s_and_b32 s82, s82, 0xffffff                               // 000000006AC0: 8652FF52 00FFFFFF
	s_cmp_lt_u32 s82, s66                                      // 000000006AC8: BF0A4252
	s_cselect_b32 s21, s36, s60                                // 000000006ACC: 85153C24
	s_mov_b64 exec, s[20:21]                                   // 000000006AD0: BEFE0114
	global_atomic_add_f32 v6, v108, s[8:9]                     // 000000006AD4: DD348000 00086C06
	s_mov_b64 exec, s[36:37]                                   // 000000006ADC: BEFE0124
	v_mov_b32_e32 v6, v63                                      // 000000006AE0: 7E0C033F
	s_mov_b64 s[60:61], 0                                      // 000000006AE4: BEBC0180
	v_readlane_b32 s82, v3, 18                                 // 000000006AE8: D2890052 00012503
	s_and_b32 s82, s82, 0xffffff                               // 000000006AF0: 8652FF52 00FFFFFF
	s_cmp_lt_u32 s82, s66                                      // 000000006AF8: BF0A4252
	s_cselect_b32 s20, s36, s60                                // 000000006AFC: 85143C24
	v_readlane_b32 s82, v3, 19                                 // 000000006B00: D2890052 00012703
	s_and_b32 s82, s82, 0xffffff                               // 000000006B08: 8652FF52 00FFFFFF
	s_cmp_lt_u32 s82, s66                                      // 000000006B10: BF0A4252
	s_cselect_b32 s21, s36, s60                                // 000000006B14: 85153C24
	s_mov_b64 exec, s[20:21]                                   // 000000006B18: BEFE0114
	global_atomic_add_f32 v6, v109, s[8:9]                     // 000000006B1C: DD348000 00086D06
	s_mov_b64 exec, s[36:37]                                   // 000000006B24: BEFE0124
	v_mov_b32_e32 v6, v64                                      // 000000006B28: 7E0C0340
	s_mov_b64 s[60:61], 0                                      // 000000006B2C: BEBC0180
	v_readlane_b32 s82, v3, 20                                 // 000000006B30: D2890052 00012903
	s_and_b32 s82, s82, 0xffffff                               // 000000006B38: 8652FF52 00FFFFFF
	s_cmp_lt_u32 s82, s66                                      // 000000006B40: BF0A4252
	s_cselect_b32 s20, s36, s60                                // 000000006B44: 85143C24
	v_readlane_b32 s82, v3, 21                                 // 000000006B48: D2890052 00012B03
	s_and_b32 s82, s82, 0xffffff                               // 000000006B50: 8652FF52 00FFFFFF
	s_cmp_lt_u32 s82, s66                                      // 000000006B58: BF0A4252
	s_cselect_b32 s21, s36, s60                                // 000000006B5C: 85153C24
	s_mov_b64 exec, s[20:21]                                   // 000000006B60: BEFE0114
	global_atomic_add_f32 v6, v112, s[8:9]                     // 000000006B64: DD348000 00087006
	s_mov_b64 exec, s[36:37]                                   // 000000006B6C: BEFE0124
	v_mov_b32_e32 v6, v65                                      // 000000006B70: 7E0C0341
	s_mov_b64 s[60:61], 0                                      // 000000006B74: BEBC0180
	v_readlane_b32 s82, v3, 22                                 // 000000006B78: D2890052 00012D03
	s_and_b32 s82, s82, 0xffffff                               // 000000006B80: 8652FF52 00FFFFFF
	s_cmp_lt_u32 s82, s66                                      // 000000006B88: BF0A4252
	s_cselect_b32 s20, s36, s60                                // 000000006B8C: 85143C24
	v_readlane_b32 s82, v3, 23                                 // 000000006B90: D2890052 00012F03
	s_and_b32 s82, s82, 0xffffff                               // 000000006B98: 8652FF52 00FFFFFF
	s_cmp_lt_u32 s82, s66                                      // 000000006BA0: BF0A4252
	s_cselect_b32 s21, s36, s60                                // 000000006BA4: 85153C24
	s_mov_b64 exec, s[20:21]                                   // 000000006BA8: BEFE0114
	global_atomic_add_f32 v6, v113, s[8:9]                     // 000000006BAC: DD348000 00087106
	s_mov_b64 exec, s[36:37]                                   // 000000006BB4: BEFE0124
	ds_write_b64 v20, v[94:95]                                 // 000000006BB8: D89A0000 00005E14
	ds_write_b64 v20, v[98:99] offset:2176                     // 000000006BC0: D89A0880 00006214
	ds_write_b64 v20, v[102:103] offset:4352                   // 000000006BC8: D89A1100 00006614
	ds_write_b64 v20, v[106:107] offset:6528                   // 000000006BD0: D89A1980 00006A14
	ds_write_b64 v20, v[110:111] offset:8704                   // 000000006BD8: D89A2200 00006E14
	ds_write_b64 v20, v[114:115] offset:10880                  // 000000006BE0: D89A2A80 00007214
	s_waitcnt lgkmcnt(0)                                       // 000000006BE8: BF8CC07F
	s_barrier                                                  // 000000006BEC: BF8A0000
	ds_read_b32 v94, v21                                       // 000000006BF0: D86C0000 5E000015
	ds_read_b32 v95, v21 offset:64                             // 000000006BF8: D86C0040 5F000015
	ds_read_b32 v98, v21 offset:2176                           // 000000006C00: D86C0880 62000015
	ds_read_b32 v99, v21 offset:2240                           // 000000006C08: D86C08C0 63000015
	ds_read_b32 v102, v21 offset:4352                          // 000000006C10: D86C1100 66000015
	ds_read_b32 v103, v21 offset:4416                          // 000000006C18: D86C1140 67000015
	ds_read_b32 v106, v21 offset:6528                          // 000000006C20: D86C1980 6A000015
	ds_read_b32 v107, v21 offset:6592                          // 000000006C28: D86C19C0 6B000015
	ds_read_b32 v110, v21 offset:8704                          // 000000006C30: D86C2200 6E000015
	ds_read_b32 v111, v21 offset:8768                          // 000000006C38: D86C2240 6F000015
	ds_read_b32 v114, v21 offset:10880                         // 000000006C40: D86C2A80 72000015
	ds_read_b32 v115, v21 offset:10944                         // 000000006C48: D86C2AC0 73000015
	s_waitcnt lgkmcnt(0)                                       // 000000006C50: BF8CC07F
	v_mov_b32_e32 v7, 0                                        // 000000006C54: 7E0E0280
	s_mov_b64 exec, s[36:37]                                   // 000000006C58: BEFE0124
	v_mov_b32_e32 v6, v54                                      // 000000006C5C: 7E0C0336
	s_mov_b64 s[60:61], 0                                      // 000000006C60: BEBC0180
	v_readlane_b32 s82, v3, 0                                  // 000000006C64: D2890052 00010103
	s_and_b32 s82, s82, 0xffffff                               // 000000006C6C: 8652FF52 00FFFFFF
	s_cmp_lt_u32 s82, s66                                      // 000000006C74: BF0A4252
	s_cselect_b32 s20, s36, s60                                // 000000006C78: 85143C24
	v_readlane_b32 s82, v3, 1                                  // 000000006C7C: D2890052 00010303
	s_and_b32 s82, s82, 0xffffff                               // 000000006C84: 8652FF52 00FFFFFF
	s_cmp_lt_u32 s82, s66                                      // 000000006C8C: BF0A4252
	s_cselect_b32 s21, s36, s60                                // 000000006C90: 85153C24
	s_mov_b64 exec, s[20:21]                                   // 000000006C94: BEFE0114
	global_atomic_add_f32 v6, v94, s[8:9] offset:8             // 000000006C98: DD348008 00085E06
	s_mov_b64 exec, s[36:37]                                   // 000000006CA0: BEFE0124
	v_mov_b32_e32 v6, v55                                      // 000000006CA4: 7E0C0337
	s_mov_b64 s[60:61], 0                                      // 000000006CA8: BEBC0180
	v_readlane_b32 s82, v3, 2                                  // 000000006CAC: D2890052 00010503
	s_and_b32 s82, s82, 0xffffff                               // 000000006CB4: 8652FF52 00FFFFFF
	s_cmp_lt_u32 s82, s66                                      // 000000006CBC: BF0A4252
	s_cselect_b32 s20, s36, s60                                // 000000006CC0: 85143C24
	v_readlane_b32 s82, v3, 3                                  // 000000006CC4: D2890052 00010703
	s_and_b32 s82, s82, 0xffffff                               // 000000006CCC: 8652FF52 00FFFFFF
	s_cmp_lt_u32 s82, s66                                      // 000000006CD4: BF0A4252
	s_cselect_b32 s21, s36, s60                                // 000000006CD8: 85153C24
	s_mov_b64 exec, s[20:21]                                   // 000000006CDC: BEFE0114
	global_atomic_add_f32 v6, v95, s[8:9] offset:8             // 000000006CE0: DD348008 00085F06
	s_mov_b64 exec, s[36:37]                                   // 000000006CE8: BEFE0124
	v_mov_b32_e32 v6, v56                                      // 000000006CEC: 7E0C0338
	s_mov_b64 s[60:61], 0                                      // 000000006CF0: BEBC0180
	v_readlane_b32 s82, v3, 4                                  // 000000006CF4: D2890052 00010903
	s_and_b32 s82, s82, 0xffffff                               // 000000006CFC: 8652FF52 00FFFFFF
	s_cmp_lt_u32 s82, s66                                      // 000000006D04: BF0A4252
	s_cselect_b32 s20, s36, s60                                // 000000006D08: 85143C24
	v_readlane_b32 s82, v3, 5                                  // 000000006D0C: D2890052 00010B03
	s_and_b32 s82, s82, 0xffffff                               // 000000006D14: 8652FF52 00FFFFFF
	s_cmp_lt_u32 s82, s66                                      // 000000006D1C: BF0A4252
	s_cselect_b32 s21, s36, s60                                // 000000006D20: 85153C24
	s_mov_b64 exec, s[20:21]                                   // 000000006D24: BEFE0114
	global_atomic_add_f32 v6, v98, s[8:9] offset:8             // 000000006D28: DD348008 00086206
	s_mov_b64 exec, s[36:37]                                   // 000000006D30: BEFE0124
	v_mov_b32_e32 v6, v57                                      // 000000006D34: 7E0C0339
	s_mov_b64 s[60:61], 0                                      // 000000006D38: BEBC0180
	v_readlane_b32 s82, v3, 6                                  // 000000006D3C: D2890052 00010D03
	s_and_b32 s82, s82, 0xffffff                               // 000000006D44: 8652FF52 00FFFFFF
	s_cmp_lt_u32 s82, s66                                      // 000000006D4C: BF0A4252
	s_cselect_b32 s20, s36, s60                                // 000000006D50: 85143C24
	v_readlane_b32 s82, v3, 7                                  // 000000006D54: D2890052 00010F03
	s_and_b32 s82, s82, 0xffffff                               // 000000006D5C: 8652FF52 00FFFFFF
	s_cmp_lt_u32 s82, s66                                      // 000000006D64: BF0A4252
	s_cselect_b32 s21, s36, s60                                // 000000006D68: 85153C24
	s_mov_b64 exec, s[20:21]                                   // 000000006D6C: BEFE0114
	global_atomic_add_f32 v6, v99, s[8:9] offset:8             // 000000006D70: DD348008 00086306
	s_mov_b64 exec, s[36:37]                                   // 000000006D78: BEFE0124
	v_mov_b32_e32 v6, v58                                      // 000000006D7C: 7E0C033A
	s_mov_b64 s[60:61], 0                                      // 000000006D80: BEBC0180
	v_readlane_b32 s82, v3, 8                                  // 000000006D84: D2890052 00011103
	s_and_b32 s82, s82, 0xffffff                               // 000000006D8C: 8652FF52 00FFFFFF
	s_cmp_lt_u32 s82, s66                                      // 000000006D94: BF0A4252
	s_cselect_b32 s20, s36, s60                                // 000000006D98: 85143C24
	v_readlane_b32 s82, v3, 9                                  // 000000006D9C: D2890052 00011303
	s_and_b32 s82, s82, 0xffffff                               // 000000006DA4: 8652FF52 00FFFFFF
	s_cmp_lt_u32 s82, s66                                      // 000000006DAC: BF0A4252
	s_cselect_b32 s21, s36, s60                                // 000000006DB0: 85153C24
	s_mov_b64 exec, s[20:21]                                   // 000000006DB4: BEFE0114
	global_atomic_add_f32 v6, v102, s[8:9] offset:8            // 000000006DB8: DD348008 00086606
	s_mov_b64 exec, s[36:37]                                   // 000000006DC0: BEFE0124
	v_mov_b32_e32 v6, v59                                      // 000000006DC4: 7E0C033B
	s_mov_b64 s[60:61], 0                                      // 000000006DC8: BEBC0180
	v_readlane_b32 s82, v3, 10                                 // 000000006DCC: D2890052 00011503
	s_and_b32 s82, s82, 0xffffff                               // 000000006DD4: 8652FF52 00FFFFFF
	s_cmp_lt_u32 s82, s66                                      // 000000006DDC: BF0A4252
	s_cselect_b32 s20, s36, s60                                // 000000006DE0: 85143C24
	v_readlane_b32 s82, v3, 11                                 // 000000006DE4: D2890052 00011703
	s_and_b32 s82, s82, 0xffffff                               // 000000006DEC: 8652FF52 00FFFFFF
	s_cmp_lt_u32 s82, s66                                      // 000000006DF4: BF0A4252
	s_cselect_b32 s21, s36, s60                                // 000000006DF8: 85153C24
	s_mov_b64 exec, s[20:21]                                   // 000000006DFC: BEFE0114
	global_atomic_add_f32 v6, v103, s[8:9] offset:8            // 000000006E00: DD348008 00086706
	s_mov_b64 exec, s[36:37]                                   // 000000006E08: BEFE0124
	v_mov_b32_e32 v6, v60                                      // 000000006E0C: 7E0C033C
	s_mov_b64 s[60:61], 0                                      // 000000006E10: BEBC0180
	v_readlane_b32 s82, v3, 12                                 // 000000006E14: D2890052 00011903
	s_and_b32 s82, s82, 0xffffff                               // 000000006E1C: 8652FF52 00FFFFFF
	s_cmp_lt_u32 s82, s66                                      // 000000006E24: BF0A4252
	s_cselect_b32 s20, s36, s60                                // 000000006E28: 85143C24
	v_readlane_b32 s82, v3, 13                                 // 000000006E2C: D2890052 00011B03
	s_and_b32 s82, s82, 0xffffff                               // 000000006E34: 8652FF52 00FFFFFF
	s_cmp_lt_u32 s82, s66                                      // 000000006E3C: BF0A4252
	s_cselect_b32 s21, s36, s60                                // 000000006E40: 85153C24
	s_mov_b64 exec, s[20:21]                                   // 000000006E44: BEFE0114
	global_atomic_add_f32 v6, v106, s[8:9] offset:8            // 000000006E48: DD348008 00086A06
	s_mov_b64 exec, s[36:37]                                   // 000000006E50: BEFE0124
	v_mov_b32_e32 v6, v61                                      // 000000006E54: 7E0C033D
	s_mov_b64 s[60:61], 0                                      // 000000006E58: BEBC0180
	v_readlane_b32 s82, v3, 14                                 // 000000006E5C: D2890052 00011D03
	s_and_b32 s82, s82, 0xffffff                               // 000000006E64: 8652FF52 00FFFFFF
	s_cmp_lt_u32 s82, s66                                      // 000000006E6C: BF0A4252
	s_cselect_b32 s20, s36, s60                                // 000000006E70: 85143C24
	v_readlane_b32 s82, v3, 15                                 // 000000006E74: D2890052 00011F03
	s_and_b32 s82, s82, 0xffffff                               // 000000006E7C: 8652FF52 00FFFFFF
	s_cmp_lt_u32 s82, s66                                      // 000000006E84: BF0A4252
	s_cselect_b32 s21, s36, s60                                // 000000006E88: 85153C24
	s_mov_b64 exec, s[20:21]                                   // 000000006E8C: BEFE0114
	global_atomic_add_f32 v6, v107, s[8:9] offset:8            // 000000006E90: DD348008 00086B06
	s_mov_b64 exec, s[36:37]                                   // 000000006E98: BEFE0124
	v_mov_b32_e32 v6, v62                                      // 000000006E9C: 7E0C033E
	s_mov_b64 s[60:61], 0                                      // 000000006EA0: BEBC0180
	v_readlane_b32 s82, v3, 16                                 // 000000006EA4: D2890052 00012103
	s_and_b32 s82, s82, 0xffffff                               // 000000006EAC: 8652FF52 00FFFFFF
	s_cmp_lt_u32 s82, s66                                      // 000000006EB4: BF0A4252
	s_cselect_b32 s20, s36, s60                                // 000000006EB8: 85143C24
	v_readlane_b32 s82, v3, 17                                 // 000000006EBC: D2890052 00012303
	s_and_b32 s82, s82, 0xffffff                               // 000000006EC4: 8652FF52 00FFFFFF
	s_cmp_lt_u32 s82, s66                                      // 000000006ECC: BF0A4252
	s_cselect_b32 s21, s36, s60                                // 000000006ED0: 85153C24
	s_mov_b64 exec, s[20:21]                                   // 000000006ED4: BEFE0114
	global_atomic_add_f32 v6, v110, s[8:9] offset:8            // 000000006ED8: DD348008 00086E06
	s_mov_b64 exec, s[36:37]                                   // 000000006EE0: BEFE0124
	v_mov_b32_e32 v6, v63                                      // 000000006EE4: 7E0C033F
	s_mov_b64 s[60:61], 0                                      // 000000006EE8: BEBC0180
	v_readlane_b32 s82, v3, 18                                 // 000000006EEC: D2890052 00012503
	s_and_b32 s82, s82, 0xffffff                               // 000000006EF4: 8652FF52 00FFFFFF
	s_cmp_lt_u32 s82, s66                                      // 000000006EFC: BF0A4252
	s_cselect_b32 s20, s36, s60                                // 000000006F00: 85143C24
	v_readlane_b32 s82, v3, 19                                 // 000000006F04: D2890052 00012703
	s_and_b32 s82, s82, 0xffffff                               // 000000006F0C: 8652FF52 00FFFFFF
	s_cmp_lt_u32 s82, s66                                      // 000000006F14: BF0A4252
	s_cselect_b32 s21, s36, s60                                // 000000006F18: 85153C24
	s_mov_b64 exec, s[20:21]                                   // 000000006F1C: BEFE0114
	global_atomic_add_f32 v6, v111, s[8:9] offset:8            // 000000006F20: DD348008 00086F06
	s_mov_b64 exec, s[36:37]                                   // 000000006F28: BEFE0124
	v_mov_b32_e32 v6, v64                                      // 000000006F2C: 7E0C0340
	s_mov_b64 s[60:61], 0                                      // 000000006F30: BEBC0180
	v_readlane_b32 s82, v3, 20                                 // 000000006F34: D2890052 00012903
	s_and_b32 s82, s82, 0xffffff                               // 000000006F3C: 8652FF52 00FFFFFF
	s_cmp_lt_u32 s82, s66                                      // 000000006F44: BF0A4252
	s_cselect_b32 s20, s36, s60                                // 000000006F48: 85143C24
	v_readlane_b32 s82, v3, 21                                 // 000000006F4C: D2890052 00012B03
	s_and_b32 s82, s82, 0xffffff                               // 000000006F54: 8652FF52 00FFFFFF
	s_cmp_lt_u32 s82, s66                                      // 000000006F5C: BF0A4252
	s_cselect_b32 s21, s36, s60                                // 000000006F60: 85153C24
	s_mov_b64 exec, s[20:21]                                   // 000000006F64: BEFE0114
	global_atomic_add_f32 v6, v114, s[8:9] offset:8            // 000000006F68: DD348008 00087206
	s_mov_b64 exec, s[36:37]                                   // 000000006F70: BEFE0124
	v_mov_b32_e32 v6, v65                                      // 000000006F74: 7E0C0341
	s_mov_b64 s[60:61], 0                                      // 000000006F78: BEBC0180
	v_readlane_b32 s82, v3, 22                                 // 000000006F7C: D2890052 00012D03
	s_and_b32 s82, s82, 0xffffff                               // 000000006F84: 8652FF52 00FFFFFF
	s_cmp_lt_u32 s82, s66                                      // 000000006F8C: BF0A4252
	s_cselect_b32 s20, s36, s60                                // 000000006F90: 85143C24
	v_readlane_b32 s82, v3, 23                                 // 000000006F94: D2890052 00012F03
	s_and_b32 s82, s82, 0xffffff                               // 000000006F9C: 8652FF52 00FFFFFF
	s_cmp_lt_u32 s82, s66                                      // 000000006FA4: BF0A4252
	s_cselect_b32 s21, s36, s60                                // 000000006FA8: 85153C24
	s_mov_b64 exec, s[20:21]                                   // 000000006FAC: BEFE0114
	global_atomic_add_f32 v6, v115, s[8:9] offset:8            // 000000006FB0: DD348008 00087306
	s_mov_b64 exec, s[36:37]                                   // 000000006FB8: BEFE0124
	s_branch label_209B                                        // 000000006FBC: BF820EE8

0000000000006fc0 <label_11B3>:
	s_waitcnt vmcnt(14) lgkmcnt(0)                             // 000000006FC0: BF8C007E
	v_mfma_f32_16x16x32_fp8_fp8 v[68:71], a[96:97], a[0:1], v[68:71]// 000000006FC4: D3F30044 1D120160
	buffer_load_dwordx4 a[112:115], v66, s[24:27], 0 offen     // 000000006FCC: E05C1000 80867042
	v_mfma_f32_16x16x32_fp8_fp8 v[68:71], a[98:99], a[2:3], v[68:71]// 000000006FD4: D3F30044 1D120562
	v_mfma_f32_16x16x32_fp8_fp8 v[68:71], a[100:101], a[4:5], v[68:71]// 000000006FDC: D3F30044 1D120964
	v_mfma_f32_16x16x32_fp8_fp8 v[68:71], a[102:103], a[6:7], v[68:71]// 000000006FE4: D3F30044 1D120D66
	v_mfma_f32_16x16x32_fp8_fp8 v[72:75], a[96:97], a[8:9], v[72:75]// 000000006FEC: D3F30048 1D221160
	buffer_load_dwordx4 a[116:119], v66, s[24:27], 0 offen offset:1024// 000000006FF4: E05C1400 80867442
	buffer_load_dword v54, s[20:23], 0 offen lds               // 000000006FFC: E0511000 80050036
	s_add_u32 m0, 0x100, s50                                   // 000000007004: 807C32FF 00000100
	v_mfma_f32_16x16x32_fp8_fp8 v[72:75], a[98:99], a[10:11], v[72:75]// 00000000700C: D3F30048 1D221562
	v_mfma_f32_16x16x32_fp8_fp8 v[72:75], a[100:101], a[12:13], v[72:75]// 000000007014: D3F30048 1D221964
	buffer_load_dword v55, s[20:23], 0 offen lds               // 00000000701C: E0511000 80050037
	s_add_u32 m0, 0x200, s50                                   // 000000007024: 807C32FF 00000200
	v_mfma_f32_16x16x32_fp8_fp8 v[72:75], a[102:103], a[14:15], v[72:75]// 00000000702C: D3F30048 1D221D66
	v_mfma_f32_16x16x32_fp8_fp8 v[76:79], a[96:97], a[16:17], v[76:79]// 000000007034: D3F3004C 1D322160
	buffer_load_dword v56, s[20:23], 0 offen lds               // 00000000703C: E0511000 80050038
	s_add_u32 m0, 0x300, s50                                   // 000000007044: 807C32FF 00000300
	v_mfma_f32_16x16x32_fp8_fp8 v[76:79], a[98:99], a[18:19], v[76:79]// 00000000704C: D3F3004C 1D322562
	v_mfma_f32_16x16x32_fp8_fp8 v[76:79], a[100:101], a[20:21], v[76:79]// 000000007054: D3F3004C 1D322964
	buffer_load_dword v57, s[20:23], 0 offen lds               // 00000000705C: E0511000 80050039
	s_add_u32 m0, 0x400, s50                                   // 000000007064: 807C32FF 00000400
	v_mfma_f32_16x16x32_fp8_fp8 v[76:79], a[102:103], a[22:23], v[76:79]// 00000000706C: D3F3004C 1D322D66
	v_mfma_f32_16x16x32_fp8_fp8 v[80:83], a[96:97], a[24:25], v[80:83]// 000000007074: D3F30050 1D423160
	buffer_load_dword v58, s[20:23], 0 offen lds               // 00000000707C: E0511000 8005003A
	s_add_u32 m0, 0x500, s50                                   // 000000007084: 807C32FF 00000500
	v_mfma_f32_16x16x32_fp8_fp8 v[80:83], a[98:99], a[26:27], v[80:83]// 00000000708C: D3F30050 1D423562
	v_mfma_f32_16x16x32_fp8_fp8 v[80:83], a[100:101], a[28:29], v[80:83]// 000000007094: D3F30050 1D423964
	buffer_load_dword v59, s[20:23], 0 offen lds               // 00000000709C: E0511000 8005003B
	s_add_u32 m0, 0x600, s50                                   // 0000000070A4: 807C32FF 00000600
	v_mfma_f32_16x16x32_fp8_fp8 v[80:83], a[102:103], a[30:31], v[80:83]// 0000000070AC: D3F30050 1D423D66
	v_mfma_f32_16x16x32_fp8_fp8 v[84:87], a[96:97], a[32:33], v[84:87]// 0000000070B4: D3F30054 1D524160
	buffer_load_dword v60, s[20:23], 0 offen lds               // 0000000070BC: E0511000 8005003C
	s_add_u32 m0, 0x700, s50                                   // 0000000070C4: 807C32FF 00000700
	v_mfma_f32_16x16x32_fp8_fp8 v[84:87], a[98:99], a[34:35], v[84:87]// 0000000070CC: D3F30054 1D524562
	v_mfma_f32_16x16x32_fp8_fp8 v[84:87], a[100:101], a[36:37], v[84:87]// 0000000070D4: D3F30054 1D524964
	buffer_load_dword v61, s[20:23], 0 offen lds               // 0000000070DC: E0511000 8005003D
	s_add_u32 m0, 0x800, s50                                   // 0000000070E4: 807C32FF 00000800
	v_mfma_f32_16x16x32_fp8_fp8 v[84:87], a[102:103], a[38:39], v[84:87]// 0000000070EC: D3F30054 1D524D66
	v_mfma_f32_16x16x32_fp8_fp8 v[88:91], a[96:97], a[40:41], v[88:91]// 0000000070F4: D3F30058 1D625160
	buffer_load_dword v62, s[20:23], 0 offen lds               // 0000000070FC: E0511000 8005003E
	s_add_u32 m0, 0x900, s50                                   // 000000007104: 807C32FF 00000900
	v_mfma_f32_16x16x32_fp8_fp8 v[88:91], a[98:99], a[42:43], v[88:91]// 00000000710C: D3F30058 1D625562
	v_mfma_f32_16x16x32_fp8_fp8 v[88:91], a[100:101], a[44:45], v[88:91]// 000000007114: D3F30058 1D625964
	buffer_load_dword v63, s[20:23], 0 offen lds               // 00000000711C: E0511000 8005003F
	s_add_u32 m0, 0xa00, s50                                   // 000000007124: 807C32FF 00000A00
	v_mfma_f32_16x16x32_fp8_fp8 v[88:91], a[102:103], a[46:47], v[88:91]// 00000000712C: D3F30058 1D625D66
	buffer_load_dword v64, s[20:23], 0 offen lds               // 000000007134: E0511000 80050040
	s_add_u32 m0, 0xb00, s50                                   // 00000000713C: 807C32FF 00000B00
	buffer_load_dword v65, s[20:23], 0 offen lds               // 000000007144: E0511000 80050041
	s_add_u32 m0, 0, s48                                       // 00000000714C: 807C3080
	s_waitcnt vmcnt(14)                                        // 000000007150: BF8C0F7E
	s_barrier                                                  // 000000007154: BF8A0000
	v_mfma_f32_16x16x32_fp8_fp8 v[92:95], a[104:105], a[0:1], v[92:95]// 000000007158: D3F3005C 1D720168
	buffer_load_dwordx4 a[96:99], v66, s[84:87], 0 offen       // 000000007160: E05C1000 80956042
	v_mfma_f32_16x16x32_fp8_fp8 v[92:95], a[106:107], a[2:3], v[92:95]// 000000007168: D3F3005C 1D72056A
	v_mfma_f32_16x16x32_fp8_fp8 v[92:95], a[108:109], a[4:5], v[92:95]// 000000007170: D3F3005C 1D72096C
	ds_read_b128 a[48:51], v2 offset:12416                     // 000000007178: DBFE3080 30000002
	ds_read_b128 a[52:55], v2 offset:12480                     // 000000007180: DBFE30C0 34000002
	v_mfma_f32_16x16x32_fp8_fp8 v[92:95], a[110:111], a[6:7], v[92:95]// 000000007188: D3F3005C 1D720D6E
	v_mfma_f32_16x16x32_fp8_fp8 v[96:99], a[104:105], a[8:9], v[96:99]// 000000007190: D3F30060 1D821168
	buffer_load_dwordx4 a[100:103], v66, s[84:87], 0 offen offset:1024// 000000007198: E05C1400 80956442
	v_mfma_f32_16x16x32_fp8_fp8 v[96:99], a[106:107], a[10:11], v[96:99]// 0000000071A0: D3F30060 1D82156A
	v_mfma_f32_16x16x32_fp8_fp8 v[96:99], a[108:109], a[12:13], v[96:99]// 0000000071A8: D3F30060 1D82196C
	ds_read_b128 a[56:59], v2 offset:12928                     // 0000000071B0: DBFE3280 38000002
	ds_read_b128 a[60:63], v2 offset:12992                     // 0000000071B8: DBFE32C0 3C000002
	v_mfma_f32_16x16x32_fp8_fp8 v[96:99], a[110:111], a[14:15], v[96:99]// 0000000071C0: D3F30060 1D821D6E
	v_mfma_f32_16x16x32_fp8_fp8 v[100:103], a[104:105], a[16:17], v[100:103]// 0000000071C8: D3F30064 1D922168
	v_mfma_f32_16x16x32_fp8_fp8 v[100:103], a[106:107], a[18:19], v[100:103]// 0000000071D0: D3F30064 1D92256A
	v_mfma_f32_16x16x32_fp8_fp8 v[100:103], a[108:109], a[20:21], v[100:103]// 0000000071D8: D3F30064 1D92296C
	ds_read_b128 a[64:67], v2 offset:13440                     // 0000000071E0: DBFE3480 40000002
	ds_read_b128 a[68:71], v2 offset:13504                     // 0000000071E8: DBFE34C0 44000002
	v_mfma_f32_16x16x32_fp8_fp8 v[100:103], a[110:111], a[22:23], v[100:103]// 0000000071F0: D3F30064 1D922D6E
	v_mfma_f32_16x16x32_fp8_fp8 v[104:107], a[104:105], a[24:25], v[104:107]// 0000000071F8: D3F30068 1DA23168
	v_mfma_f32_16x16x32_fp8_fp8 v[104:107], a[106:107], a[26:27], v[104:107]// 000000007200: D3F30068 1DA2356A
	v_mfma_f32_16x16x32_fp8_fp8 v[104:107], a[108:109], a[28:29], v[104:107]// 000000007208: D3F30068 1DA2396C
	ds_read_b128 a[72:75], v2 offset:13952                     // 000000007210: DBFE3680 48000002
	ds_read_b128 a[76:79], v2 offset:14016                     // 000000007218: DBFE36C0 4C000002
	v_mfma_f32_16x16x32_fp8_fp8 v[104:107], a[110:111], a[30:31], v[104:107]// 000000007220: D3F30068 1DA23D6E
	v_mfma_f32_16x16x32_fp8_fp8 v[108:111], a[104:105], a[32:33], v[108:111]// 000000007228: D3F3006C 1DB24168
	s_add_u32 s60, 0x180, s80                                  // 000000007230: 803C50FF 00000180
	s_cmp_lt_u32 s60, s81                                      // 000000007238: BF0A513C
	s_cselect_b32 s57, s57, 0                                  // 00000000723C: 85398039
	v_mfma_f32_16x16x32_fp8_fp8 v[108:111], a[106:107], a[34:35], v[108:111]// 000000007240: D3F3006C 1DB2456A
	s_add_u32 s60, 0x100, s80                                  // 000000007248: 803C50FF 00000100
	s_cmp_lt_u32 s60, s81                                      // 000000007250: BF0A513C
	s_cselect_b32 s58, s58, 0                                  // 000000007254: 853A803A
	v_mfma_f32_16x16x32_fp8_fp8 v[108:111], a[108:109], a[36:37], v[108:111]// 000000007258: D3F3006C 1DB2496C
	ds_read_b128 a[80:83], v2 offset:14464                     // 000000007260: DBFE3880 50000002
	ds_read_b128 a[84:87], v2 offset:14528                     // 000000007268: DBFE38C0 54000002
	s_add_u32 s60, 0x100, s80                                  // 000000007270: 803C50FF 00000100
	s_cmp_lt_u32 s60, s81                                      // 000000007278: BF0A513C
	s_cselect_b32 s83, s83, 0                                  // 00000000727C: 85538053
	v_mfma_f32_16x16x32_fp8_fp8 v[108:111], a[110:111], a[38:39], v[108:111]// 000000007280: D3F3006C 1DB24D6E
	s_add_u32 s24, s58, s24                                    // 000000007288: 8018183A
	s_addc_u32 s25, 0, s25                                     // 00000000728C: 82191980
	v_mfma_f32_16x16x32_fp8_fp8 v[112:115], a[104:105], a[40:41], v[112:115]// 000000007290: D3F30070 1DC25168
	s_add_u32 s20, s57, s20                                    // 000000007298: 80141439
	s_addc_u32 s21, 0, s21                                     // 00000000729C: 82151580
	v_mfma_f32_16x16x32_fp8_fp8 v[112:115], a[106:107], a[42:43], v[112:115]// 0000000072A0: D3F30070 1DC2556A
	s_add_u32 s84, s83, s84                                    // 0000000072A8: 80545453
	s_addc_u32 s85, 0, s85                                     // 0000000072AC: 82555580
	v_mfma_f32_16x16x32_fp8_fp8 v[112:115], a[108:109], a[44:45], v[112:115]// 0000000072B0: D3F30070 1DC2596C
	ds_read_b128 a[88:91], v2 offset:14976                     // 0000000072B8: DBFE3A80 58000002
	ds_read_b128 a[92:95], v2 offset:15040                     // 0000000072C0: DBFE3AC0 5C000002
	v_mfma_f32_16x16x32_fp8_fp8 v[112:115], a[110:111], a[46:47], v[112:115]// 0000000072C8: D3F30070 1DC25D6E
	s_addk_i32 s80, 0x80                                       // 0000000072D0: B7500080
	s_cmp_lt_i32 s80, s81                                      // 0000000072D4: BF045150
	s_cbranch_scc0 label_165E                                  // 0000000072D8: BF8403E4
	s_waitcnt vmcnt(14) lgkmcnt(0)                             // 0000000072DC: BF8C007E
	v_mfma_f32_16x16x32_fp8_fp8 v[68:71], a[112:113], a[48:49], v[68:71]// 0000000072E0: D3F30044 1D126170
	buffer_load_dwordx4 a[104:107], v66, s[24:27], 0 offen     // 0000000072E8: E05C1000 80866842
	v_mfma_f32_16x16x32_fp8_fp8 v[68:71], a[114:115], a[50:51], v[68:71]// 0000000072F0: D3F30044 1D126572
	v_mfma_f32_16x16x32_fp8_fp8 v[68:71], a[116:117], a[52:53], v[68:71]// 0000000072F8: D3F30044 1D126974
	v_mfma_f32_16x16x32_fp8_fp8 v[68:71], a[118:119], a[54:55], v[68:71]// 000000007300: D3F30044 1D126D76
	v_mfma_f32_16x16x32_fp8_fp8 v[72:75], a[112:113], a[56:57], v[72:75]// 000000007308: D3F30048 1D227170
	buffer_load_dwordx4 a[108:111], v66, s[24:27], 0 offen offset:1024// 000000007310: E05C1400 80866C42
	buffer_load_dword v54, s[20:23], 0 offen lds               // 000000007318: E0511000 80050036
	s_add_u32 m0, 0x100, s48                                   // 000000007320: 807C30FF 00000100
	v_mfma_f32_16x16x32_fp8_fp8 v[72:75], a[114:115], a[58:59], v[72:75]// 000000007328: D3F30048 1D227572
	v_mfma_f32_16x16x32_fp8_fp8 v[72:75], a[116:117], a[60:61], v[72:75]// 000000007330: D3F30048 1D227974
	buffer_load_dword v55, s[20:23], 0 offen lds               // 000000007338: E0511000 80050037
	s_add_u32 m0, 0x200, s48                                   // 000000007340: 807C30FF 00000200
	v_mfma_f32_16x16x32_fp8_fp8 v[72:75], a[118:119], a[62:63], v[72:75]// 000000007348: D3F30048 1D227D76
	v_mfma_f32_16x16x32_fp8_fp8 v[76:79], a[112:113], a[64:65], v[76:79]// 000000007350: D3F3004C 1D328170
	buffer_load_dword v56, s[20:23], 0 offen lds               // 000000007358: E0511000 80050038
	s_add_u32 m0, 0x300, s48                                   // 000000007360: 807C30FF 00000300
	v_mfma_f32_16x16x32_fp8_fp8 v[76:79], a[114:115], a[66:67], v[76:79]// 000000007368: D3F3004C 1D328572
	v_mfma_f32_16x16x32_fp8_fp8 v[76:79], a[116:117], a[68:69], v[76:79]// 000000007370: D3F3004C 1D328974
	buffer_load_dword v57, s[20:23], 0 offen lds               // 000000007378: E0511000 80050039
	s_add_u32 m0, 0x400, s48                                   // 000000007380: 807C30FF 00000400
	v_mfma_f32_16x16x32_fp8_fp8 v[76:79], a[118:119], a[70:71], v[76:79]// 000000007388: D3F3004C 1D328D76
	v_mfma_f32_16x16x32_fp8_fp8 v[80:83], a[112:113], a[72:73], v[80:83]// 000000007390: D3F30050 1D429170
	buffer_load_dword v58, s[20:23], 0 offen lds               // 000000007398: E0511000 8005003A
	s_add_u32 m0, 0x500, s48                                   // 0000000073A0: 807C30FF 00000500
	v_mfma_f32_16x16x32_fp8_fp8 v[80:83], a[114:115], a[74:75], v[80:83]// 0000000073A8: D3F30050 1D429572
	v_mfma_f32_16x16x32_fp8_fp8 v[80:83], a[116:117], a[76:77], v[80:83]// 0000000073B0: D3F30050 1D429974
	buffer_load_dword v59, s[20:23], 0 offen lds               // 0000000073B8: E0511000 8005003B
	s_add_u32 m0, 0x600, s48                                   // 0000000073C0: 807C30FF 00000600
	v_mfma_f32_16x16x32_fp8_fp8 v[80:83], a[118:119], a[78:79], v[80:83]// 0000000073C8: D3F30050 1D429D76
	v_mfma_f32_16x16x32_fp8_fp8 v[84:87], a[112:113], a[80:81], v[84:87]// 0000000073D0: D3F30054 1D52A170
	buffer_load_dword v60, s[20:23], 0 offen lds               // 0000000073D8: E0511000 8005003C
	s_add_u32 m0, 0x700, s48                                   // 0000000073E0: 807C30FF 00000700
	v_mfma_f32_16x16x32_fp8_fp8 v[84:87], a[114:115], a[82:83], v[84:87]// 0000000073E8: D3F30054 1D52A572
	v_mfma_f32_16x16x32_fp8_fp8 v[84:87], a[116:117], a[84:85], v[84:87]// 0000000073F0: D3F30054 1D52A974
	buffer_load_dword v61, s[20:23], 0 offen lds               // 0000000073F8: E0511000 8005003D
	s_add_u32 m0, 0x800, s48                                   // 000000007400: 807C30FF 00000800
	v_mfma_f32_16x16x32_fp8_fp8 v[84:87], a[118:119], a[86:87], v[84:87]// 000000007408: D3F30054 1D52AD76
	v_mfma_f32_16x16x32_fp8_fp8 v[88:91], a[112:113], a[88:89], v[88:91]// 000000007410: D3F30058 1D62B170
	buffer_load_dword v62, s[20:23], 0 offen lds               // 000000007418: E0511000 8005003E
	s_add_u32 m0, 0x900, s48                                   // 000000007420: 807C30FF 00000900
	v_mfma_f32_16x16x32_fp8_fp8 v[88:91], a[114:115], a[90:91], v[88:91]// 000000007428: D3F30058 1D62B572
	v_mfma_f32_16x16x32_fp8_fp8 v[88:91], a[116:117], a[92:93], v[88:91]// 000000007430: D3F30058 1D62B974
	buffer_load_dword v63, s[20:23], 0 offen lds               // 000000007438: E0511000 8005003F
	s_add_u32 m0, 0xa00, s48                                   // 000000007440: 807C30FF 00000A00
	v_mfma_f32_16x16x32_fp8_fp8 v[88:91], a[118:119], a[94:95], v[88:91]// 000000007448: D3F30058 1D62BD76
	buffer_load_dword v64, s[20:23], 0 offen lds               // 000000007450: E0511000 80050040
	s_add_u32 m0, 0xb00, s48                                   // 000000007458: 807C30FF 00000B00
	buffer_load_dword v65, s[20:23], 0 offen lds               // 000000007460: E0511000 80050041
	s_add_u32 m0, 0, s49                                       // 000000007468: 807C3180
	s_waitcnt vmcnt(14)                                        // 00000000746C: BF8C0F7E
	s_barrier                                                  // 000000007470: BF8A0000
	v_mfma_f32_16x16x32_fp8_fp8 v[92:95], a[96:97], a[48:49], v[92:95]// 000000007474: D3F3005C 1D726160
	buffer_load_dwordx4 a[112:115], v66, s[84:87], 0 offen     // 00000000747C: E05C1000 80957042
	v_mfma_f32_16x16x32_fp8_fp8 v[92:95], a[98:99], a[50:51], v[92:95]// 000000007484: D3F3005C 1D726562
	v_mfma_f32_16x16x32_fp8_fp8 v[92:95], a[100:101], a[52:53], v[92:95]// 00000000748C: D3F3005C 1D726964
	ds_read_b128 a[0:3], v2 offset:24832                       // 000000007494: DBFE6100 00000002
	ds_read_b128 a[4:7], v2 offset:24896                       // 00000000749C: DBFE6140 04000002
	v_mfma_f32_16x16x32_fp8_fp8 v[92:95], a[102:103], a[54:55], v[92:95]// 0000000074A4: D3F3005C 1D726D66
	v_mfma_f32_16x16x32_fp8_fp8 v[96:99], a[96:97], a[56:57], v[96:99]// 0000000074AC: D3F30060 1D827160
	buffer_load_dwordx4 a[116:119], v66, s[84:87], 0 offen offset:1024// 0000000074B4: E05C1400 80957442
	v_mfma_f32_16x16x32_fp8_fp8 v[96:99], a[98:99], a[58:59], v[96:99]// 0000000074BC: D3F30060 1D827562
	v_mfma_f32_16x16x32_fp8_fp8 v[96:99], a[100:101], a[60:61], v[96:99]// 0000000074C4: D3F30060 1D827964
	ds_read_b128 a[8:11], v2 offset:25344                      // 0000000074CC: DBFE6300 08000002
	ds_read_b128 a[12:15], v2 offset:25408                     // 0000000074D4: DBFE6340 0C000002
	v_mfma_f32_16x16x32_fp8_fp8 v[96:99], a[102:103], a[62:63], v[96:99]// 0000000074DC: D3F30060 1D827D66
	v_mfma_f32_16x16x32_fp8_fp8 v[100:103], a[96:97], a[64:65], v[100:103]// 0000000074E4: D3F30064 1D928160
	v_mfma_f32_16x16x32_fp8_fp8 v[100:103], a[98:99], a[66:67], v[100:103]// 0000000074EC: D3F30064 1D928562
	v_mfma_f32_16x16x32_fp8_fp8 v[100:103], a[100:101], a[68:69], v[100:103]// 0000000074F4: D3F30064 1D928964
	ds_read_b128 a[16:19], v2 offset:25856                     // 0000000074FC: DBFE6500 10000002
	ds_read_b128 a[20:23], v2 offset:25920                     // 000000007504: DBFE6540 14000002
	v_mfma_f32_16x16x32_fp8_fp8 v[100:103], a[102:103], a[70:71], v[100:103]// 00000000750C: D3F30064 1D928D66
	v_mfma_f32_16x16x32_fp8_fp8 v[104:107], a[96:97], a[72:73], v[104:107]// 000000007514: D3F30068 1DA29160
	v_mfma_f32_16x16x32_fp8_fp8 v[104:107], a[98:99], a[74:75], v[104:107]// 00000000751C: D3F30068 1DA29562
	v_mfma_f32_16x16x32_fp8_fp8 v[104:107], a[100:101], a[76:77], v[104:107]// 000000007524: D3F30068 1DA29964
	ds_read_b128 a[24:27], v2 offset:26368                     // 00000000752C: DBFE6700 18000002
	ds_read_b128 a[28:31], v2 offset:26432                     // 000000007534: DBFE6740 1C000002
	v_mfma_f32_16x16x32_fp8_fp8 v[104:107], a[102:103], a[78:79], v[104:107]// 00000000753C: D3F30068 1DA29D66
	v_mfma_f32_16x16x32_fp8_fp8 v[108:111], a[96:97], a[80:81], v[108:111]// 000000007544: D3F3006C 1DB2A160
	s_add_u32 s60, 0x180, s80                                  // 00000000754C: 803C50FF 00000180
	s_cmp_lt_u32 s60, s81                                      // 000000007554: BF0A513C
	s_cselect_b32 s57, s57, 0                                  // 000000007558: 85398039
	v_mfma_f32_16x16x32_fp8_fp8 v[108:111], a[98:99], a[82:83], v[108:111]// 00000000755C: D3F3006C 1DB2A562
	s_add_u32 s60, 0x100, s80                                  // 000000007564: 803C50FF 00000100
	s_cmp_lt_u32 s60, s81                                      // 00000000756C: BF0A513C
	s_cselect_b32 s58, s58, 0                                  // 000000007570: 853A803A
	v_mfma_f32_16x16x32_fp8_fp8 v[108:111], a[100:101], a[84:85], v[108:111]// 000000007574: D3F3006C 1DB2A964
	ds_read_b128 a[32:35], v2 offset:26880                     // 00000000757C: DBFE6900 20000002
	ds_read_b128 a[36:39], v2 offset:26944                     // 000000007584: DBFE6940 24000002
	s_add_u32 s60, 0x100, s80                                  // 00000000758C: 803C50FF 00000100
	s_cmp_lt_u32 s60, s81                                      // 000000007594: BF0A513C
	s_cselect_b32 s83, s83, 0                                  // 000000007598: 85538053
	v_mfma_f32_16x16x32_fp8_fp8 v[108:111], a[102:103], a[86:87], v[108:111]// 00000000759C: D3F3006C 1DB2AD66
	s_add_u32 s24, s58, s24                                    // 0000000075A4: 8018183A
	s_addc_u32 s25, 0, s25                                     // 0000000075A8: 82191980
	v_mfma_f32_16x16x32_fp8_fp8 v[112:115], a[96:97], a[88:89], v[112:115]// 0000000075AC: D3F30070 1DC2B160
	s_add_u32 s20, s57, s20                                    // 0000000075B4: 80141439
	s_addc_u32 s21, 0, s21                                     // 0000000075B8: 82151580
	v_mfma_f32_16x16x32_fp8_fp8 v[112:115], a[98:99], a[90:91], v[112:115]// 0000000075BC: D3F30070 1DC2B562
	s_add_u32 s84, s83, s84                                    // 0000000075C4: 80545453
	s_addc_u32 s85, 0, s85                                     // 0000000075C8: 82555580
	v_mfma_f32_16x16x32_fp8_fp8 v[112:115], a[100:101], a[92:93], v[112:115]// 0000000075CC: D3F30070 1DC2B964
	ds_read_b128 a[40:43], v2 offset:27392                     // 0000000075D4: DBFE6B00 28000002
	ds_read_b128 a[44:47], v2 offset:27456                     // 0000000075DC: DBFE6B40 2C000002
	v_mfma_f32_16x16x32_fp8_fp8 v[112:115], a[102:103], a[94:95], v[112:115]// 0000000075E4: D3F30070 1DC2BD66
	s_addk_i32 s80, 0x80                                       // 0000000075EC: B7500080
	s_cmp_lt_i32 s80, s81                                      // 0000000075F0: BF045150
	s_cbranch_scc0 label_165E                                  // 0000000075F4: BF84031D
	s_waitcnt vmcnt(14) lgkmcnt(0)                             // 0000000075F8: BF8C007E
	v_mfma_f32_16x16x32_fp8_fp8 v[68:71], a[104:105], a[0:1], v[68:71]// 0000000075FC: D3F30044 1D120168
	buffer_load_dwordx4 a[96:99], v66, s[24:27], 0 offen       // 000000007604: E05C1000 80866042
	v_mfma_f32_16x16x32_fp8_fp8 v[68:71], a[106:107], a[2:3], v[68:71]// 00000000760C: D3F30044 1D12056A
	v_mfma_f32_16x16x32_fp8_fp8 v[68:71], a[108:109], a[4:5], v[68:71]// 000000007614: D3F30044 1D12096C
	v_mfma_f32_16x16x32_fp8_fp8 v[68:71], a[110:111], a[6:7], v[68:71]// 00000000761C: D3F30044 1D120D6E
	v_mfma_f32_16x16x32_fp8_fp8 v[72:75], a[104:105], a[8:9], v[72:75]// 000000007624: D3F30048 1D221168
	buffer_load_dwordx4 a[100:103], v66, s[24:27], 0 offen offset:1024// 00000000762C: E05C1400 80866442
	buffer_load_dword v54, s[20:23], 0 offen lds               // 000000007634: E0511000 80050036
	s_add_u32 m0, 0x100, s49                                   // 00000000763C: 807C31FF 00000100
	v_mfma_f32_16x16x32_fp8_fp8 v[72:75], a[106:107], a[10:11], v[72:75]// 000000007644: D3F30048 1D22156A
	v_mfma_f32_16x16x32_fp8_fp8 v[72:75], a[108:109], a[12:13], v[72:75]// 00000000764C: D3F30048 1D22196C
	buffer_load_dword v55, s[20:23], 0 offen lds               // 000000007654: E0511000 80050037
	s_add_u32 m0, 0x200, s49                                   // 00000000765C: 807C31FF 00000200
	v_mfma_f32_16x16x32_fp8_fp8 v[72:75], a[110:111], a[14:15], v[72:75]// 000000007664: D3F30048 1D221D6E
	v_mfma_f32_16x16x32_fp8_fp8 v[76:79], a[104:105], a[16:17], v[76:79]// 00000000766C: D3F3004C 1D322168
	buffer_load_dword v56, s[20:23], 0 offen lds               // 000000007674: E0511000 80050038
	s_add_u32 m0, 0x300, s49                                   // 00000000767C: 807C31FF 00000300
	v_mfma_f32_16x16x32_fp8_fp8 v[76:79], a[106:107], a[18:19], v[76:79]// 000000007684: D3F3004C 1D32256A
	v_mfma_f32_16x16x32_fp8_fp8 v[76:79], a[108:109], a[20:21], v[76:79]// 00000000768C: D3F3004C 1D32296C
	buffer_load_dword v57, s[20:23], 0 offen lds               // 000000007694: E0511000 80050039
	s_add_u32 m0, 0x400, s49                                   // 00000000769C: 807C31FF 00000400
	v_mfma_f32_16x16x32_fp8_fp8 v[76:79], a[110:111], a[22:23], v[76:79]// 0000000076A4: D3F3004C 1D322D6E
	v_mfma_f32_16x16x32_fp8_fp8 v[80:83], a[104:105], a[24:25], v[80:83]// 0000000076AC: D3F30050 1D423168
	buffer_load_dword v58, s[20:23], 0 offen lds               // 0000000076B4: E0511000 8005003A
	s_add_u32 m0, 0x500, s49                                   // 0000000076BC: 807C31FF 00000500
	v_mfma_f32_16x16x32_fp8_fp8 v[80:83], a[106:107], a[26:27], v[80:83]// 0000000076C4: D3F30050 1D42356A
	v_mfma_f32_16x16x32_fp8_fp8 v[80:83], a[108:109], a[28:29], v[80:83]// 0000000076CC: D3F30050 1D42396C
	buffer_load_dword v59, s[20:23], 0 offen lds               // 0000000076D4: E0511000 8005003B
	s_add_u32 m0, 0x600, s49                                   // 0000000076DC: 807C31FF 00000600
	v_mfma_f32_16x16x32_fp8_fp8 v[80:83], a[110:111], a[30:31], v[80:83]// 0000000076E4: D3F30050 1D423D6E
	v_mfma_f32_16x16x32_fp8_fp8 v[84:87], a[104:105], a[32:33], v[84:87]// 0000000076EC: D3F30054 1D524168
	buffer_load_dword v60, s[20:23], 0 offen lds               // 0000000076F4: E0511000 8005003C
	s_add_u32 m0, 0x700, s49                                   // 0000000076FC: 807C31FF 00000700
	v_mfma_f32_16x16x32_fp8_fp8 v[84:87], a[106:107], a[34:35], v[84:87]// 000000007704: D3F30054 1D52456A
	v_mfma_f32_16x16x32_fp8_fp8 v[84:87], a[108:109], a[36:37], v[84:87]// 00000000770C: D3F30054 1D52496C
	buffer_load_dword v61, s[20:23], 0 offen lds               // 000000007714: E0511000 8005003D
	s_add_u32 m0, 0x800, s49                                   // 00000000771C: 807C31FF 00000800
	v_mfma_f32_16x16x32_fp8_fp8 v[84:87], a[110:111], a[38:39], v[84:87]// 000000007724: D3F30054 1D524D6E
	v_mfma_f32_16x16x32_fp8_fp8 v[88:91], a[104:105], a[40:41], v[88:91]// 00000000772C: D3F30058 1D625168
	buffer_load_dword v62, s[20:23], 0 offen lds               // 000000007734: E0511000 8005003E
	s_add_u32 m0, 0x900, s49                                   // 00000000773C: 807C31FF 00000900
	v_mfma_f32_16x16x32_fp8_fp8 v[88:91], a[106:107], a[42:43], v[88:91]// 000000007744: D3F30058 1D62556A
	v_mfma_f32_16x16x32_fp8_fp8 v[88:91], a[108:109], a[44:45], v[88:91]// 00000000774C: D3F30058 1D62596C
	buffer_load_dword v63, s[20:23], 0 offen lds               // 000000007754: E0511000 8005003F
	s_add_u32 m0, 0xa00, s49                                   // 00000000775C: 807C31FF 00000A00
	v_mfma_f32_16x16x32_fp8_fp8 v[88:91], a[110:111], a[46:47], v[88:91]// 000000007764: D3F30058 1D625D6E
	buffer_load_dword v64, s[20:23], 0 offen lds               // 00000000776C: E0511000 80050040
	s_add_u32 m0, 0xb00, s49                                   // 000000007774: 807C31FF 00000B00
	buffer_load_dword v65, s[20:23], 0 offen lds               // 00000000777C: E0511000 80050041
	s_add_u32 m0, 0, s50                                       // 000000007784: 807C3280
	s_waitcnt vmcnt(14)                                        // 000000007788: BF8C0F7E
	s_barrier                                                  // 00000000778C: BF8A0000
	v_mfma_f32_16x16x32_fp8_fp8 v[92:95], a[112:113], a[0:1], v[92:95]// 000000007790: D3F3005C 1D720170
	buffer_load_dwordx4 a[104:107], v66, s[84:87], 0 offen     // 000000007798: E05C1000 80956842
	v_mfma_f32_16x16x32_fp8_fp8 v[92:95], a[114:115], a[2:3], v[92:95]// 0000000077A0: D3F3005C 1D720572
	v_mfma_f32_16x16x32_fp8_fp8 v[92:95], a[116:117], a[4:5], v[92:95]// 0000000077A8: D3F3005C 1D720974
	ds_read_b128 a[48:51], v2                                  // 0000000077B0: DBFE0000 30000002
	ds_read_b128 a[52:55], v2 offset:64                        // 0000000077B8: DBFE0040 34000002
	v_mfma_f32_16x16x32_fp8_fp8 v[92:95], a[118:119], a[6:7], v[92:95]// 0000000077C0: D3F3005C 1D720D76
	v_mfma_f32_16x16x32_fp8_fp8 v[96:99], a[112:113], a[8:9], v[96:99]// 0000000077C8: D3F30060 1D821170
	buffer_load_dwordx4 a[108:111], v66, s[84:87], 0 offen offset:1024// 0000000077D0: E05C1400 80956C42
	v_mfma_f32_16x16x32_fp8_fp8 v[96:99], a[114:115], a[10:11], v[96:99]// 0000000077D8: D3F30060 1D821572
	v_mfma_f32_16x16x32_fp8_fp8 v[96:99], a[116:117], a[12:13], v[96:99]// 0000000077E0: D3F30060 1D821974
	ds_read_b128 a[56:59], v2 offset:512                       // 0000000077E8: DBFE0200 38000002
	ds_read_b128 a[60:63], v2 offset:576                       // 0000000077F0: DBFE0240 3C000002
	v_mfma_f32_16x16x32_fp8_fp8 v[96:99], a[118:119], a[14:15], v[96:99]// 0000000077F8: D3F30060 1D821D76
	v_mfma_f32_16x16x32_fp8_fp8 v[100:103], a[112:113], a[16:17], v[100:103]// 000000007800: D3F30064 1D922170
	v_mfma_f32_16x16x32_fp8_fp8 v[100:103], a[114:115], a[18:19], v[100:103]// 000000007808: D3F30064 1D922572
	v_mfma_f32_16x16x32_fp8_fp8 v[100:103], a[116:117], a[20:21], v[100:103]// 000000007810: D3F30064 1D922974
	ds_read_b128 a[64:67], v2 offset:1024                      // 000000007818: DBFE0400 40000002
	ds_read_b128 a[68:71], v2 offset:1088                      // 000000007820: DBFE0440 44000002
	v_mfma_f32_16x16x32_fp8_fp8 v[100:103], a[118:119], a[22:23], v[100:103]// 000000007828: D3F30064 1D922D76
	v_mfma_f32_16x16x32_fp8_fp8 v[104:107], a[112:113], a[24:25], v[104:107]// 000000007830: D3F30068 1DA23170
	v_mfma_f32_16x16x32_fp8_fp8 v[104:107], a[114:115], a[26:27], v[104:107]// 000000007838: D3F30068 1DA23572
	v_mfma_f32_16x16x32_fp8_fp8 v[104:107], a[116:117], a[28:29], v[104:107]// 000000007840: D3F30068 1DA23974
	ds_read_b128 a[72:75], v2 offset:1536                      // 000000007848: DBFE0600 48000002
	ds_read_b128 a[76:79], v2 offset:1600                      // 000000007850: DBFE0640 4C000002
	v_mfma_f32_16x16x32_fp8_fp8 v[104:107], a[118:119], a[30:31], v[104:107]// 000000007858: D3F30068 1DA23D76
	v_mfma_f32_16x16x32_fp8_fp8 v[108:111], a[112:113], a[32:33], v[108:111]// 000000007860: D3F3006C 1DB24170
	s_add_u32 s60, 0x180, s80                                  // 000000007868: 803C50FF 00000180
	s_cmp_lt_u32 s60, s81                                      // 000000007870: BF0A513C
	s_cselect_b32 s57, s57, 0                                  // 000000007874: 85398039
	v_mfma_f32_16x16x32_fp8_fp8 v[108:111], a[114:115], a[34:35], v[108:111]// 000000007878: D3F3006C 1DB24572
	s_add_u32 s60, 0x100, s80                                  // 000000007880: 803C50FF 00000100
	s_cmp_lt_u32 s60, s81                                      // 000000007888: BF0A513C
	s_cselect_b32 s58, s58, 0                                  // 00000000788C: 853A803A
	v_mfma_f32_16x16x32_fp8_fp8 v[108:111], a[116:117], a[36:37], v[108:111]// 000000007890: D3F3006C 1DB24974
	ds_read_b128 a[80:83], v2 offset:2048                      // 000000007898: DBFE0800 50000002
	ds_read_b128 a[84:87], v2 offset:2112                      // 0000000078A0: DBFE0840 54000002
	s_add_u32 s60, 0x100, s80                                  // 0000000078A8: 803C50FF 00000100
	s_cmp_lt_u32 s60, s81                                      // 0000000078B0: BF0A513C
	s_cselect_b32 s83, s83, 0                                  // 0000000078B4: 85538053
	v_mfma_f32_16x16x32_fp8_fp8 v[108:111], a[118:119], a[38:39], v[108:111]// 0000000078B8: D3F3006C 1DB24D76
	s_add_u32 s24, s58, s24                                    // 0000000078C0: 8018183A
	s_addc_u32 s25, 0, s25                                     // 0000000078C4: 82191980
	v_mfma_f32_16x16x32_fp8_fp8 v[112:115], a[112:113], a[40:41], v[112:115]// 0000000078C8: D3F30070 1DC25170
	s_add_u32 s20, s57, s20                                    // 0000000078D0: 80141439
	s_addc_u32 s21, 0, s21                                     // 0000000078D4: 82151580
	v_mfma_f32_16x16x32_fp8_fp8 v[112:115], a[114:115], a[42:43], v[112:115]// 0000000078D8: D3F30070 1DC25572
	s_add_u32 s84, s83, s84                                    // 0000000078E0: 80545453
	s_addc_u32 s85, 0, s85                                     // 0000000078E4: 82555580
	v_mfma_f32_16x16x32_fp8_fp8 v[112:115], a[116:117], a[44:45], v[112:115]// 0000000078E8: D3F30070 1DC25974
	ds_read_b128 a[88:91], v2 offset:2560                      // 0000000078F0: DBFE0A00 58000002
	ds_read_b128 a[92:95], v2 offset:2624                      // 0000000078F8: DBFE0A40 5C000002
	v_mfma_f32_16x16x32_fp8_fp8 v[112:115], a[118:119], a[46:47], v[112:115]// 000000007900: D3F30070 1DC25D76
	s_addk_i32 s80, 0x80                                       // 000000007908: B7500080
	s_cmp_lt_i32 s80, s81                                      // 00000000790C: BF045150
	s_cbranch_scc0 label_165E                                  // 000000007910: BF840256
	s_waitcnt vmcnt(14) lgkmcnt(0)                             // 000000007914: BF8C007E
	v_mfma_f32_16x16x32_fp8_fp8 v[68:71], a[96:97], a[48:49], v[68:71]// 000000007918: D3F30044 1D126160
	buffer_load_dwordx4 a[112:115], v66, s[24:27], 0 offen     // 000000007920: E05C1000 80867042
	v_mfma_f32_16x16x32_fp8_fp8 v[68:71], a[98:99], a[50:51], v[68:71]// 000000007928: D3F30044 1D126562
	v_mfma_f32_16x16x32_fp8_fp8 v[68:71], a[100:101], a[52:53], v[68:71]// 000000007930: D3F30044 1D126964
	v_mfma_f32_16x16x32_fp8_fp8 v[68:71], a[102:103], a[54:55], v[68:71]// 000000007938: D3F30044 1D126D66
	v_mfma_f32_16x16x32_fp8_fp8 v[72:75], a[96:97], a[56:57], v[72:75]// 000000007940: D3F30048 1D227160
	buffer_load_dwordx4 a[116:119], v66, s[24:27], 0 offen offset:1024// 000000007948: E05C1400 80867442
	buffer_load_dword v54, s[20:23], 0 offen lds               // 000000007950: E0511000 80050036
	s_add_u32 m0, 0x100, s50                                   // 000000007958: 807C32FF 00000100
	v_mfma_f32_16x16x32_fp8_fp8 v[72:75], a[98:99], a[58:59], v[72:75]// 000000007960: D3F30048 1D227562
	v_mfma_f32_16x16x32_fp8_fp8 v[72:75], a[100:101], a[60:61], v[72:75]// 000000007968: D3F30048 1D227964
	buffer_load_dword v55, s[20:23], 0 offen lds               // 000000007970: E0511000 80050037
	s_add_u32 m0, 0x200, s50                                   // 000000007978: 807C32FF 00000200
	v_mfma_f32_16x16x32_fp8_fp8 v[72:75], a[102:103], a[62:63], v[72:75]// 000000007980: D3F30048 1D227D66
	v_mfma_f32_16x16x32_fp8_fp8 v[76:79], a[96:97], a[64:65], v[76:79]// 000000007988: D3F3004C 1D328160
	buffer_load_dword v56, s[20:23], 0 offen lds               // 000000007990: E0511000 80050038
	s_add_u32 m0, 0x300, s50                                   // 000000007998: 807C32FF 00000300
	v_mfma_f32_16x16x32_fp8_fp8 v[76:79], a[98:99], a[66:67], v[76:79]// 0000000079A0: D3F3004C 1D328562
	v_mfma_f32_16x16x32_fp8_fp8 v[76:79], a[100:101], a[68:69], v[76:79]// 0000000079A8: D3F3004C 1D328964
	buffer_load_dword v57, s[20:23], 0 offen lds               // 0000000079B0: E0511000 80050039
	s_add_u32 m0, 0x400, s50                                   // 0000000079B8: 807C32FF 00000400
	v_mfma_f32_16x16x32_fp8_fp8 v[76:79], a[102:103], a[70:71], v[76:79]// 0000000079C0: D3F3004C 1D328D66
	v_mfma_f32_16x16x32_fp8_fp8 v[80:83], a[96:97], a[72:73], v[80:83]// 0000000079C8: D3F30050 1D429160
	buffer_load_dword v58, s[20:23], 0 offen lds               // 0000000079D0: E0511000 8005003A
	s_add_u32 m0, 0x500, s50                                   // 0000000079D8: 807C32FF 00000500
	v_mfma_f32_16x16x32_fp8_fp8 v[80:83], a[98:99], a[74:75], v[80:83]// 0000000079E0: D3F30050 1D429562
	v_mfma_f32_16x16x32_fp8_fp8 v[80:83], a[100:101], a[76:77], v[80:83]// 0000000079E8: D3F30050 1D429964
	buffer_load_dword v59, s[20:23], 0 offen lds               // 0000000079F0: E0511000 8005003B
	s_add_u32 m0, 0x600, s50                                   // 0000000079F8: 807C32FF 00000600
	v_mfma_f32_16x16x32_fp8_fp8 v[80:83], a[102:103], a[78:79], v[80:83]// 000000007A00: D3F30050 1D429D66
	v_mfma_f32_16x16x32_fp8_fp8 v[84:87], a[96:97], a[80:81], v[84:87]// 000000007A08: D3F30054 1D52A160
	buffer_load_dword v60, s[20:23], 0 offen lds               // 000000007A10: E0511000 8005003C
	s_add_u32 m0, 0x700, s50                                   // 000000007A18: 807C32FF 00000700
	v_mfma_f32_16x16x32_fp8_fp8 v[84:87], a[98:99], a[82:83], v[84:87]// 000000007A20: D3F30054 1D52A562
	v_mfma_f32_16x16x32_fp8_fp8 v[84:87], a[100:101], a[84:85], v[84:87]// 000000007A28: D3F30054 1D52A964
	buffer_load_dword v61, s[20:23], 0 offen lds               // 000000007A30: E0511000 8005003D
	s_add_u32 m0, 0x800, s50                                   // 000000007A38: 807C32FF 00000800
	v_mfma_f32_16x16x32_fp8_fp8 v[84:87], a[102:103], a[86:87], v[84:87]// 000000007A40: D3F30054 1D52AD66
	v_mfma_f32_16x16x32_fp8_fp8 v[88:91], a[96:97], a[88:89], v[88:91]// 000000007A48: D3F30058 1D62B160
	buffer_load_dword v62, s[20:23], 0 offen lds               // 000000007A50: E0511000 8005003E
	s_add_u32 m0, 0x900, s50                                   // 000000007A58: 807C32FF 00000900
	v_mfma_f32_16x16x32_fp8_fp8 v[88:91], a[98:99], a[90:91], v[88:91]// 000000007A60: D3F30058 1D62B562
	v_mfma_f32_16x16x32_fp8_fp8 v[88:91], a[100:101], a[92:93], v[88:91]// 000000007A68: D3F30058 1D62B964
	buffer_load_dword v63, s[20:23], 0 offen lds               // 000000007A70: E0511000 8005003F
	s_add_u32 m0, 0xa00, s50                                   // 000000007A78: 807C32FF 00000A00
	v_mfma_f32_16x16x32_fp8_fp8 v[88:91], a[102:103], a[94:95], v[88:91]// 000000007A80: D3F30058 1D62BD66
	buffer_load_dword v64, s[20:23], 0 offen lds               // 000000007A88: E0511000 80050040
	s_add_u32 m0, 0xb00, s50                                   // 000000007A90: 807C32FF 00000B00
	buffer_load_dword v65, s[20:23], 0 offen lds               // 000000007A98: E0511000 80050041
	s_add_u32 m0, 0, s48                                       // 000000007AA0: 807C3080
	s_waitcnt vmcnt(14)                                        // 000000007AA4: BF8C0F7E
	s_barrier                                                  // 000000007AA8: BF8A0000
	v_mfma_f32_16x16x32_fp8_fp8 v[92:95], a[104:105], a[48:49], v[92:95]// 000000007AAC: D3F3005C 1D726168
	buffer_load_dwordx4 a[96:99], v66, s[84:87], 0 offen       // 000000007AB4: E05C1000 80956042
	v_mfma_f32_16x16x32_fp8_fp8 v[92:95], a[106:107], a[50:51], v[92:95]// 000000007ABC: D3F3005C 1D72656A
	v_mfma_f32_16x16x32_fp8_fp8 v[92:95], a[108:109], a[52:53], v[92:95]// 000000007AC4: D3F3005C 1D72696C
	ds_read_b128 a[0:3], v2 offset:12416                       // 000000007ACC: DBFE3080 00000002
	ds_read_b128 a[4:7], v2 offset:12480                       // 000000007AD4: DBFE30C0 04000002
	v_mfma_f32_16x16x32_fp8_fp8 v[92:95], a[110:111], a[54:55], v[92:95]// 000000007ADC: D3F3005C 1D726D6E
	v_mfma_f32_16x16x32_fp8_fp8 v[96:99], a[104:105], a[56:57], v[96:99]// 000000007AE4: D3F30060 1D827168
	buffer_load_dwordx4 a[100:103], v66, s[84:87], 0 offen offset:1024// 000000007AEC: E05C1400 80956442
	v_mfma_f32_16x16x32_fp8_fp8 v[96:99], a[106:107], a[58:59], v[96:99]// 000000007AF4: D3F30060 1D82756A
	v_mfma_f32_16x16x32_fp8_fp8 v[96:99], a[108:109], a[60:61], v[96:99]// 000000007AFC: D3F30060 1D82796C
	ds_read_b128 a[8:11], v2 offset:12928                      // 000000007B04: DBFE3280 08000002
	ds_read_b128 a[12:15], v2 offset:12992                     // 000000007B0C: DBFE32C0 0C000002
	v_mfma_f32_16x16x32_fp8_fp8 v[96:99], a[110:111], a[62:63], v[96:99]// 000000007B14: D3F30060 1D827D6E
	v_mfma_f32_16x16x32_fp8_fp8 v[100:103], a[104:105], a[64:65], v[100:103]// 000000007B1C: D3F30064 1D928168
	v_mfma_f32_16x16x32_fp8_fp8 v[100:103], a[106:107], a[66:67], v[100:103]// 000000007B24: D3F30064 1D92856A
	v_mfma_f32_16x16x32_fp8_fp8 v[100:103], a[108:109], a[68:69], v[100:103]// 000000007B2C: D3F30064 1D92896C
	ds_read_b128 a[16:19], v2 offset:13440                     // 000000007B34: DBFE3480 10000002
	ds_read_b128 a[20:23], v2 offset:13504                     // 000000007B3C: DBFE34C0 14000002
	v_mfma_f32_16x16x32_fp8_fp8 v[100:103], a[110:111], a[70:71], v[100:103]// 000000007B44: D3F30064 1D928D6E
	v_mfma_f32_16x16x32_fp8_fp8 v[104:107], a[104:105], a[72:73], v[104:107]// 000000007B4C: D3F30068 1DA29168
	v_mfma_f32_16x16x32_fp8_fp8 v[104:107], a[106:107], a[74:75], v[104:107]// 000000007B54: D3F30068 1DA2956A
	v_mfma_f32_16x16x32_fp8_fp8 v[104:107], a[108:109], a[76:77], v[104:107]// 000000007B5C: D3F30068 1DA2996C
	ds_read_b128 a[24:27], v2 offset:13952                     // 000000007B64: DBFE3680 18000002
	ds_read_b128 a[28:31], v2 offset:14016                     // 000000007B6C: DBFE36C0 1C000002
	v_mfma_f32_16x16x32_fp8_fp8 v[104:107], a[110:111], a[78:79], v[104:107]// 000000007B74: D3F30068 1DA29D6E
	v_mfma_f32_16x16x32_fp8_fp8 v[108:111], a[104:105], a[80:81], v[108:111]// 000000007B7C: D3F3006C 1DB2A168
	s_add_u32 s60, 0x180, s80                                  // 000000007B84: 803C50FF 00000180
	s_cmp_lt_u32 s60, s81                                      // 000000007B8C: BF0A513C
	s_cselect_b32 s57, s57, 0                                  // 000000007B90: 85398039
	v_mfma_f32_16x16x32_fp8_fp8 v[108:111], a[106:107], a[82:83], v[108:111]// 000000007B94: D3F3006C 1DB2A56A
	s_add_u32 s60, 0x100, s80                                  // 000000007B9C: 803C50FF 00000100
	s_cmp_lt_u32 s60, s81                                      // 000000007BA4: BF0A513C
	s_cselect_b32 s58, s58, 0                                  // 000000007BA8: 853A803A
	v_mfma_f32_16x16x32_fp8_fp8 v[108:111], a[108:109], a[84:85], v[108:111]// 000000007BAC: D3F3006C 1DB2A96C
	ds_read_b128 a[32:35], v2 offset:14464                     // 000000007BB4: DBFE3880 20000002
	ds_read_b128 a[36:39], v2 offset:14528                     // 000000007BBC: DBFE38C0 24000002
	s_add_u32 s60, 0x100, s80                                  // 000000007BC4: 803C50FF 00000100
	s_cmp_lt_u32 s60, s81                                      // 000000007BCC: BF0A513C
	s_cselect_b32 s83, s83, 0                                  // 000000007BD0: 85538053
	v_mfma_f32_16x16x32_fp8_fp8 v[108:111], a[110:111], a[86:87], v[108:111]// 000000007BD4: D3F3006C 1DB2AD6E
	s_add_u32 s24, s58, s24                                    // 000000007BDC: 8018183A
	s_addc_u32 s25, 0, s25                                     // 000000007BE0: 82191980
	v_mfma_f32_16x16x32_fp8_fp8 v[112:115], a[104:105], a[88:89], v[112:115]// 000000007BE4: D3F30070 1DC2B168
	s_add_u32 s20, s57, s20                                    // 000000007BEC: 80141439
	s_addc_u32 s21, 0, s21                                     // 000000007BF0: 82151580
	v_mfma_f32_16x16x32_fp8_fp8 v[112:115], a[106:107], a[90:91], v[112:115]// 000000007BF4: D3F30070 1DC2B56A
	s_add_u32 s84, s83, s84                                    // 000000007BFC: 80545453
	s_addc_u32 s85, 0, s85                                     // 000000007C00: 82555580
	v_mfma_f32_16x16x32_fp8_fp8 v[112:115], a[108:109], a[92:93], v[112:115]// 000000007C04: D3F30070 1DC2B96C
	ds_read_b128 a[40:43], v2 offset:14976                     // 000000007C0C: DBFE3A80 28000002
	ds_read_b128 a[44:47], v2 offset:15040                     // 000000007C14: DBFE3AC0 2C000002
	v_mfma_f32_16x16x32_fp8_fp8 v[112:115], a[110:111], a[94:95], v[112:115]// 000000007C1C: D3F30070 1DC2BD6E
	s_addk_i32 s80, 0x80                                       // 000000007C24: B7500080
	s_cmp_lt_i32 s80, s81                                      // 000000007C28: BF045150
	s_cbranch_scc0 label_165E                                  // 000000007C2C: BF84018F
	s_waitcnt vmcnt(14) lgkmcnt(0)                             // 000000007C30: BF8C007E
	v_mfma_f32_16x16x32_fp8_fp8 v[68:71], a[112:113], a[0:1], v[68:71]// 000000007C34: D3F30044 1D120170
	buffer_load_dwordx4 a[104:107], v66, s[24:27], 0 offen     // 000000007C3C: E05C1000 80866842
	v_mfma_f32_16x16x32_fp8_fp8 v[68:71], a[114:115], a[2:3], v[68:71]// 000000007C44: D3F30044 1D120572
	v_mfma_f32_16x16x32_fp8_fp8 v[68:71], a[116:117], a[4:5], v[68:71]// 000000007C4C: D3F30044 1D120974
	v_mfma_f32_16x16x32_fp8_fp8 v[68:71], a[118:119], a[6:7], v[68:71]// 000000007C54: D3F30044 1D120D76
	v_mfma_f32_16x16x32_fp8_fp8 v[72:75], a[112:113], a[8:9], v[72:75]// 000000007C5C: D3F30048 1D221170
	buffer_load_dwordx4 a[108:111], v66, s[24:27], 0 offen offset:1024// 000000007C64: E05C1400 80866C42
	buffer_load_dword v54, s[20:23], 0 offen lds               // 000000007C6C: E0511000 80050036
	s_add_u32 m0, 0x100, s48                                   // 000000007C74: 807C30FF 00000100
	v_mfma_f32_16x16x32_fp8_fp8 v[72:75], a[114:115], a[10:11], v[72:75]// 000000007C7C: D3F30048 1D221572
	v_mfma_f32_16x16x32_fp8_fp8 v[72:75], a[116:117], a[12:13], v[72:75]// 000000007C84: D3F30048 1D221974
	buffer_load_dword v55, s[20:23], 0 offen lds               // 000000007C8C: E0511000 80050037
	s_add_u32 m0, 0x200, s48                                   // 000000007C94: 807C30FF 00000200
	v_mfma_f32_16x16x32_fp8_fp8 v[72:75], a[118:119], a[14:15], v[72:75]// 000000007C9C: D3F30048 1D221D76
	v_mfma_f32_16x16x32_fp8_fp8 v[76:79], a[112:113], a[16:17], v[76:79]// 000000007CA4: D3F3004C 1D322170
	buffer_load_dword v56, s[20:23], 0 offen lds               // 000000007CAC: E0511000 80050038
	s_add_u32 m0, 0x300, s48                                   // 000000007CB4: 807C30FF 00000300
	v_mfma_f32_16x16x32_fp8_fp8 v[76:79], a[114:115], a[18:19], v[76:79]// 000000007CBC: D3F3004C 1D322572
	v_mfma_f32_16x16x32_fp8_fp8 v[76:79], a[116:117], a[20:21], v[76:79]// 000000007CC4: D3F3004C 1D322974
	buffer_load_dword v57, s[20:23], 0 offen lds               // 000000007CCC: E0511000 80050039
	s_add_u32 m0, 0x400, s48                                   // 000000007CD4: 807C30FF 00000400
	v_mfma_f32_16x16x32_fp8_fp8 v[76:79], a[118:119], a[22:23], v[76:79]// 000000007CDC: D3F3004C 1D322D76
	v_mfma_f32_16x16x32_fp8_fp8 v[80:83], a[112:113], a[24:25], v[80:83]// 000000007CE4: D3F30050 1D423170
	buffer_load_dword v58, s[20:23], 0 offen lds               // 000000007CEC: E0511000 8005003A
	s_add_u32 m0, 0x500, s48                                   // 000000007CF4: 807C30FF 00000500
	v_mfma_f32_16x16x32_fp8_fp8 v[80:83], a[114:115], a[26:27], v[80:83]// 000000007CFC: D3F30050 1D423572
	v_mfma_f32_16x16x32_fp8_fp8 v[80:83], a[116:117], a[28:29], v[80:83]// 000000007D04: D3F30050 1D423974
	buffer_load_dword v59, s[20:23], 0 offen lds               // 000000007D0C: E0511000 8005003B
	s_add_u32 m0, 0x600, s48                                   // 000000007D14: 807C30FF 00000600
	v_mfma_f32_16x16x32_fp8_fp8 v[80:83], a[118:119], a[30:31], v[80:83]// 000000007D1C: D3F30050 1D423D76
	v_mfma_f32_16x16x32_fp8_fp8 v[84:87], a[112:113], a[32:33], v[84:87]// 000000007D24: D3F30054 1D524170
	buffer_load_dword v60, s[20:23], 0 offen lds               // 000000007D2C: E0511000 8005003C
	s_add_u32 m0, 0x700, s48                                   // 000000007D34: 807C30FF 00000700
	v_mfma_f32_16x16x32_fp8_fp8 v[84:87], a[114:115], a[34:35], v[84:87]// 000000007D3C: D3F30054 1D524572
	v_mfma_f32_16x16x32_fp8_fp8 v[84:87], a[116:117], a[36:37], v[84:87]// 000000007D44: D3F30054 1D524974
	buffer_load_dword v61, s[20:23], 0 offen lds               // 000000007D4C: E0511000 8005003D
	s_add_u32 m0, 0x800, s48                                   // 000000007D54: 807C30FF 00000800
	v_mfma_f32_16x16x32_fp8_fp8 v[84:87], a[118:119], a[38:39], v[84:87]// 000000007D5C: D3F30054 1D524D76
	v_mfma_f32_16x16x32_fp8_fp8 v[88:91], a[112:113], a[40:41], v[88:91]// 000000007D64: D3F30058 1D625170
	buffer_load_dword v62, s[20:23], 0 offen lds               // 000000007D6C: E0511000 8005003E
	s_add_u32 m0, 0x900, s48                                   // 000000007D74: 807C30FF 00000900
	v_mfma_f32_16x16x32_fp8_fp8 v[88:91], a[114:115], a[42:43], v[88:91]// 000000007D7C: D3F30058 1D625572
	v_mfma_f32_16x16x32_fp8_fp8 v[88:91], a[116:117], a[44:45], v[88:91]// 000000007D84: D3F30058 1D625974
	buffer_load_dword v63, s[20:23], 0 offen lds               // 000000007D8C: E0511000 8005003F
	s_add_u32 m0, 0xa00, s48                                   // 000000007D94: 807C30FF 00000A00
	v_mfma_f32_16x16x32_fp8_fp8 v[88:91], a[118:119], a[46:47], v[88:91]// 000000007D9C: D3F30058 1D625D76
	buffer_load_dword v64, s[20:23], 0 offen lds               // 000000007DA4: E0511000 80050040
	s_add_u32 m0, 0xb00, s48                                   // 000000007DAC: 807C30FF 00000B00
	buffer_load_dword v65, s[20:23], 0 offen lds               // 000000007DB4: E0511000 80050041
	s_add_u32 m0, 0, s49                                       // 000000007DBC: 807C3180
	s_waitcnt vmcnt(14)                                        // 000000007DC0: BF8C0F7E
	s_barrier                                                  // 000000007DC4: BF8A0000
	v_mfma_f32_16x16x32_fp8_fp8 v[92:95], a[96:97], a[0:1], v[92:95]// 000000007DC8: D3F3005C 1D720160
	buffer_load_dwordx4 a[112:115], v66, s[84:87], 0 offen     // 000000007DD0: E05C1000 80957042
	v_mfma_f32_16x16x32_fp8_fp8 v[92:95], a[98:99], a[2:3], v[92:95]// 000000007DD8: D3F3005C 1D720562
	v_mfma_f32_16x16x32_fp8_fp8 v[92:95], a[100:101], a[4:5], v[92:95]// 000000007DE0: D3F3005C 1D720964
	ds_read_b128 a[48:51], v2 offset:24832                     // 000000007DE8: DBFE6100 30000002
	ds_read_b128 a[52:55], v2 offset:24896                     // 000000007DF0: DBFE6140 34000002
	v_mfma_f32_16x16x32_fp8_fp8 v[92:95], a[102:103], a[6:7], v[92:95]// 000000007DF8: D3F3005C 1D720D66
	v_mfma_f32_16x16x32_fp8_fp8 v[96:99], a[96:97], a[8:9], v[96:99]// 000000007E00: D3F30060 1D821160
	buffer_load_dwordx4 a[116:119], v66, s[84:87], 0 offen offset:1024// 000000007E08: E05C1400 80957442
	v_mfma_f32_16x16x32_fp8_fp8 v[96:99], a[98:99], a[10:11], v[96:99]// 000000007E10: D3F30060 1D821562
	v_mfma_f32_16x16x32_fp8_fp8 v[96:99], a[100:101], a[12:13], v[96:99]// 000000007E18: D3F30060 1D821964
	ds_read_b128 a[56:59], v2 offset:25344                     // 000000007E20: DBFE6300 38000002
	ds_read_b128 a[60:63], v2 offset:25408                     // 000000007E28: DBFE6340 3C000002
	v_mfma_f32_16x16x32_fp8_fp8 v[96:99], a[102:103], a[14:15], v[96:99]// 000000007E30: D3F30060 1D821D66
	v_mfma_f32_16x16x32_fp8_fp8 v[100:103], a[96:97], a[16:17], v[100:103]// 000000007E38: D3F30064 1D922160
	v_mfma_f32_16x16x32_fp8_fp8 v[100:103], a[98:99], a[18:19], v[100:103]// 000000007E40: D3F30064 1D922562
	v_mfma_f32_16x16x32_fp8_fp8 v[100:103], a[100:101], a[20:21], v[100:103]// 000000007E48: D3F30064 1D922964
	ds_read_b128 a[64:67], v2 offset:25856                     // 000000007E50: DBFE6500 40000002
	ds_read_b128 a[68:71], v2 offset:25920                     // 000000007E58: DBFE6540 44000002
	v_mfma_f32_16x16x32_fp8_fp8 v[100:103], a[102:103], a[22:23], v[100:103]// 000000007E60: D3F30064 1D922D66
	v_mfma_f32_16x16x32_fp8_fp8 v[104:107], a[96:97], a[24:25], v[104:107]// 000000007E68: D3F30068 1DA23160
	v_mfma_f32_16x16x32_fp8_fp8 v[104:107], a[98:99], a[26:27], v[104:107]// 000000007E70: D3F30068 1DA23562
	v_mfma_f32_16x16x32_fp8_fp8 v[104:107], a[100:101], a[28:29], v[104:107]// 000000007E78: D3F30068 1DA23964
	ds_read_b128 a[72:75], v2 offset:26368                     // 000000007E80: DBFE6700 48000002
	ds_read_b128 a[76:79], v2 offset:26432                     // 000000007E88: DBFE6740 4C000002
	v_mfma_f32_16x16x32_fp8_fp8 v[104:107], a[102:103], a[30:31], v[104:107]// 000000007E90: D3F30068 1DA23D66
	v_mfma_f32_16x16x32_fp8_fp8 v[108:111], a[96:97], a[32:33], v[108:111]// 000000007E98: D3F3006C 1DB24160
	s_add_u32 s60, 0x180, s80                                  // 000000007EA0: 803C50FF 00000180
	s_cmp_lt_u32 s60, s81                                      // 000000007EA8: BF0A513C
	s_cselect_b32 s57, s57, 0                                  // 000000007EAC: 85398039
	v_mfma_f32_16x16x32_fp8_fp8 v[108:111], a[98:99], a[34:35], v[108:111]// 000000007EB0: D3F3006C 1DB24562
	s_add_u32 s60, 0x100, s80                                  // 000000007EB8: 803C50FF 00000100
	s_cmp_lt_u32 s60, s81                                      // 000000007EC0: BF0A513C
	s_cselect_b32 s58, s58, 0                                  // 000000007EC4: 853A803A
	v_mfma_f32_16x16x32_fp8_fp8 v[108:111], a[100:101], a[36:37], v[108:111]// 000000007EC8: D3F3006C 1DB24964
	ds_read_b128 a[80:83], v2 offset:26880                     // 000000007ED0: DBFE6900 50000002
	ds_read_b128 a[84:87], v2 offset:26944                     // 000000007ED8: DBFE6940 54000002
	s_add_u32 s60, 0x100, s80                                  // 000000007EE0: 803C50FF 00000100
	s_cmp_lt_u32 s60, s81                                      // 000000007EE8: BF0A513C
	s_cselect_b32 s83, s83, 0                                  // 000000007EEC: 85538053
	v_mfma_f32_16x16x32_fp8_fp8 v[108:111], a[102:103], a[38:39], v[108:111]// 000000007EF0: D3F3006C 1DB24D66
	s_add_u32 s24, s58, s24                                    // 000000007EF8: 8018183A
	s_addc_u32 s25, 0, s25                                     // 000000007EFC: 82191980
	v_mfma_f32_16x16x32_fp8_fp8 v[112:115], a[96:97], a[40:41], v[112:115]// 000000007F00: D3F30070 1DC25160
	s_add_u32 s20, s57, s20                                    // 000000007F08: 80141439
	s_addc_u32 s21, 0, s21                                     // 000000007F0C: 82151580
	v_mfma_f32_16x16x32_fp8_fp8 v[112:115], a[98:99], a[42:43], v[112:115]// 000000007F10: D3F30070 1DC25562
	s_add_u32 s84, s83, s84                                    // 000000007F18: 80545453
	s_addc_u32 s85, 0, s85                                     // 000000007F1C: 82555580
	v_mfma_f32_16x16x32_fp8_fp8 v[112:115], a[100:101], a[44:45], v[112:115]// 000000007F20: D3F30070 1DC25964
	ds_read_b128 a[88:91], v2 offset:27392                     // 000000007F28: DBFE6B00 58000002
	ds_read_b128 a[92:95], v2 offset:27456                     // 000000007F30: DBFE6B40 5C000002
	v_mfma_f32_16x16x32_fp8_fp8 v[112:115], a[102:103], a[46:47], v[112:115]// 000000007F38: D3F30070 1DC25D66
	s_addk_i32 s80, 0x80                                       // 000000007F40: B7500080
	s_cmp_lt_i32 s80, s81                                      // 000000007F44: BF045150
	s_cbranch_scc0 label_165E                                  // 000000007F48: BF8400C8
	s_waitcnt vmcnt(14) lgkmcnt(0)                             // 000000007F4C: BF8C007E
	v_mfma_f32_16x16x32_fp8_fp8 v[68:71], a[104:105], a[48:49], v[68:71]// 000000007F50: D3F30044 1D126168
	buffer_load_dwordx4 a[96:99], v66, s[24:27], 0 offen       // 000000007F58: E05C1000 80866042
	v_mfma_f32_16x16x32_fp8_fp8 v[68:71], a[106:107], a[50:51], v[68:71]// 000000007F60: D3F30044 1D12656A
	v_mfma_f32_16x16x32_fp8_fp8 v[68:71], a[108:109], a[52:53], v[68:71]// 000000007F68: D3F30044 1D12696C
	v_mfma_f32_16x16x32_fp8_fp8 v[68:71], a[110:111], a[54:55], v[68:71]// 000000007F70: D3F30044 1D126D6E
	v_mfma_f32_16x16x32_fp8_fp8 v[72:75], a[104:105], a[56:57], v[72:75]// 000000007F78: D3F30048 1D227168
	buffer_load_dwordx4 a[100:103], v66, s[24:27], 0 offen offset:1024// 000000007F80: E05C1400 80866442
	buffer_load_dword v54, s[20:23], 0 offen lds               // 000000007F88: E0511000 80050036
	s_add_u32 m0, 0x100, s49                                   // 000000007F90: 807C31FF 00000100
	v_mfma_f32_16x16x32_fp8_fp8 v[72:75], a[106:107], a[58:59], v[72:75]// 000000007F98: D3F30048 1D22756A
	v_mfma_f32_16x16x32_fp8_fp8 v[72:75], a[108:109], a[60:61], v[72:75]// 000000007FA0: D3F30048 1D22796C
	buffer_load_dword v55, s[20:23], 0 offen lds               // 000000007FA8: E0511000 80050037
	s_add_u32 m0, 0x200, s49                                   // 000000007FB0: 807C31FF 00000200
	v_mfma_f32_16x16x32_fp8_fp8 v[72:75], a[110:111], a[62:63], v[72:75]// 000000007FB8: D3F30048 1D227D6E
	v_mfma_f32_16x16x32_fp8_fp8 v[76:79], a[104:105], a[64:65], v[76:79]// 000000007FC0: D3F3004C 1D328168
	buffer_load_dword v56, s[20:23], 0 offen lds               // 000000007FC8: E0511000 80050038
	s_add_u32 m0, 0x300, s49                                   // 000000007FD0: 807C31FF 00000300
	v_mfma_f32_16x16x32_fp8_fp8 v[76:79], a[106:107], a[66:67], v[76:79]// 000000007FD8: D3F3004C 1D32856A
	v_mfma_f32_16x16x32_fp8_fp8 v[76:79], a[108:109], a[68:69], v[76:79]// 000000007FE0: D3F3004C 1D32896C
	buffer_load_dword v57, s[20:23], 0 offen lds               // 000000007FE8: E0511000 80050039
	s_add_u32 m0, 0x400, s49                                   // 000000007FF0: 807C31FF 00000400
	v_mfma_f32_16x16x32_fp8_fp8 v[76:79], a[110:111], a[70:71], v[76:79]// 000000007FF8: D3F3004C 1D328D6E
	v_mfma_f32_16x16x32_fp8_fp8 v[80:83], a[104:105], a[72:73], v[80:83]// 000000008000: D3F30050 1D429168
	buffer_load_dword v58, s[20:23], 0 offen lds               // 000000008008: E0511000 8005003A
	s_add_u32 m0, 0x500, s49                                   // 000000008010: 807C31FF 00000500
	v_mfma_f32_16x16x32_fp8_fp8 v[80:83], a[106:107], a[74:75], v[80:83]// 000000008018: D3F30050 1D42956A
	v_mfma_f32_16x16x32_fp8_fp8 v[80:83], a[108:109], a[76:77], v[80:83]// 000000008020: D3F30050 1D42996C
	buffer_load_dword v59, s[20:23], 0 offen lds               // 000000008028: E0511000 8005003B
	s_add_u32 m0, 0x600, s49                                   // 000000008030: 807C31FF 00000600
	v_mfma_f32_16x16x32_fp8_fp8 v[80:83], a[110:111], a[78:79], v[80:83]// 000000008038: D3F30050 1D429D6E
	v_mfma_f32_16x16x32_fp8_fp8 v[84:87], a[104:105], a[80:81], v[84:87]// 000000008040: D3F30054 1D52A168
	buffer_load_dword v60, s[20:23], 0 offen lds               // 000000008048: E0511000 8005003C
	s_add_u32 m0, 0x700, s49                                   // 000000008050: 807C31FF 00000700
	v_mfma_f32_16x16x32_fp8_fp8 v[84:87], a[106:107], a[82:83], v[84:87]// 000000008058: D3F30054 1D52A56A
	v_mfma_f32_16x16x32_fp8_fp8 v[84:87], a[108:109], a[84:85], v[84:87]// 000000008060: D3F30054 1D52A96C
	buffer_load_dword v61, s[20:23], 0 offen lds               // 000000008068: E0511000 8005003D
	s_add_u32 m0, 0x800, s49                                   // 000000008070: 807C31FF 00000800
	v_mfma_f32_16x16x32_fp8_fp8 v[84:87], a[110:111], a[86:87], v[84:87]// 000000008078: D3F30054 1D52AD6E
	v_mfma_f32_16x16x32_fp8_fp8 v[88:91], a[104:105], a[88:89], v[88:91]// 000000008080: D3F30058 1D62B168
	buffer_load_dword v62, s[20:23], 0 offen lds               // 000000008088: E0511000 8005003E
	s_add_u32 m0, 0x900, s49                                   // 000000008090: 807C31FF 00000900
	v_mfma_f32_16x16x32_fp8_fp8 v[88:91], a[106:107], a[90:91], v[88:91]// 000000008098: D3F30058 1D62B56A
	v_mfma_f32_16x16x32_fp8_fp8 v[88:91], a[108:109], a[92:93], v[88:91]// 0000000080A0: D3F30058 1D62B96C
	buffer_load_dword v63, s[20:23], 0 offen lds               // 0000000080A8: E0511000 8005003F
	s_add_u32 m0, 0xa00, s49                                   // 0000000080B0: 807C31FF 00000A00
	v_mfma_f32_16x16x32_fp8_fp8 v[88:91], a[110:111], a[94:95], v[88:91]// 0000000080B8: D3F30058 1D62BD6E
	buffer_load_dword v64, s[20:23], 0 offen lds               // 0000000080C0: E0511000 80050040
	s_add_u32 m0, 0xb00, s49                                   // 0000000080C8: 807C31FF 00000B00
	buffer_load_dword v65, s[20:23], 0 offen lds               // 0000000080D0: E0511000 80050041
	s_add_u32 m0, 0, s50                                       // 0000000080D8: 807C3280
	s_waitcnt vmcnt(14)                                        // 0000000080DC: BF8C0F7E
	s_barrier                                                  // 0000000080E0: BF8A0000
	v_mfma_f32_16x16x32_fp8_fp8 v[92:95], a[112:113], a[48:49], v[92:95]// 0000000080E4: D3F3005C 1D726170
	buffer_load_dwordx4 a[104:107], v66, s[84:87], 0 offen     // 0000000080EC: E05C1000 80956842
	v_mfma_f32_16x16x32_fp8_fp8 v[92:95], a[114:115], a[50:51], v[92:95]// 0000000080F4: D3F3005C 1D726572
	v_mfma_f32_16x16x32_fp8_fp8 v[92:95], a[116:117], a[52:53], v[92:95]// 0000000080FC: D3F3005C 1D726974
	ds_read_b128 a[0:3], v2                                    // 000000008104: DBFE0000 00000002
	ds_read_b128 a[4:7], v2 offset:64                          // 00000000810C: DBFE0040 04000002
	v_mfma_f32_16x16x32_fp8_fp8 v[92:95], a[118:119], a[54:55], v[92:95]// 000000008114: D3F3005C 1D726D76
	v_mfma_f32_16x16x32_fp8_fp8 v[96:99], a[112:113], a[56:57], v[96:99]// 00000000811C: D3F30060 1D827170
	buffer_load_dwordx4 a[108:111], v66, s[84:87], 0 offen offset:1024// 000000008124: E05C1400 80956C42
	v_mfma_f32_16x16x32_fp8_fp8 v[96:99], a[114:115], a[58:59], v[96:99]// 00000000812C: D3F30060 1D827572
	v_mfma_f32_16x16x32_fp8_fp8 v[96:99], a[116:117], a[60:61], v[96:99]// 000000008134: D3F30060 1D827974
	ds_read_b128 a[8:11], v2 offset:512                        // 00000000813C: DBFE0200 08000002
	ds_read_b128 a[12:15], v2 offset:576                       // 000000008144: DBFE0240 0C000002
	v_mfma_f32_16x16x32_fp8_fp8 v[96:99], a[118:119], a[62:63], v[96:99]// 00000000814C: D3F30060 1D827D76
	v_mfma_f32_16x16x32_fp8_fp8 v[100:103], a[112:113], a[64:65], v[100:103]// 000000008154: D3F30064 1D928170
	v_mfma_f32_16x16x32_fp8_fp8 v[100:103], a[114:115], a[66:67], v[100:103]// 00000000815C: D3F30064 1D928572
	v_mfma_f32_16x16x32_fp8_fp8 v[100:103], a[116:117], a[68:69], v[100:103]// 000000008164: D3F30064 1D928974
	ds_read_b128 a[16:19], v2 offset:1024                      // 00000000816C: DBFE0400 10000002
	ds_read_b128 a[20:23], v2 offset:1088                      // 000000008174: DBFE0440 14000002
	v_mfma_f32_16x16x32_fp8_fp8 v[100:103], a[118:119], a[70:71], v[100:103]// 00000000817C: D3F30064 1D928D76
	v_mfma_f32_16x16x32_fp8_fp8 v[104:107], a[112:113], a[72:73], v[104:107]// 000000008184: D3F30068 1DA29170
	v_mfma_f32_16x16x32_fp8_fp8 v[104:107], a[114:115], a[74:75], v[104:107]// 00000000818C: D3F30068 1DA29572
	v_mfma_f32_16x16x32_fp8_fp8 v[104:107], a[116:117], a[76:77], v[104:107]// 000000008194: D3F30068 1DA29974
	ds_read_b128 a[24:27], v2 offset:1536                      // 00000000819C: DBFE0600 18000002
	ds_read_b128 a[28:31], v2 offset:1600                      // 0000000081A4: DBFE0640 1C000002
	v_mfma_f32_16x16x32_fp8_fp8 v[104:107], a[118:119], a[78:79], v[104:107]// 0000000081AC: D3F30068 1DA29D76
	v_mfma_f32_16x16x32_fp8_fp8 v[108:111], a[112:113], a[80:81], v[108:111]// 0000000081B4: D3F3006C 1DB2A170
	s_add_u32 s60, 0x180, s80                                  // 0000000081BC: 803C50FF 00000180
	s_cmp_lt_u32 s60, s81                                      // 0000000081C4: BF0A513C
	s_cselect_b32 s57, s57, 0                                  // 0000000081C8: 85398039
	v_mfma_f32_16x16x32_fp8_fp8 v[108:111], a[114:115], a[82:83], v[108:111]// 0000000081CC: D3F3006C 1DB2A572
	s_add_u32 s60, 0x100, s80                                  // 0000000081D4: 803C50FF 00000100
	s_cmp_lt_u32 s60, s81                                      // 0000000081DC: BF0A513C
	s_cselect_b32 s58, s58, 0                                  // 0000000081E0: 853A803A
	v_mfma_f32_16x16x32_fp8_fp8 v[108:111], a[116:117], a[84:85], v[108:111]// 0000000081E4: D3F3006C 1DB2A974
	ds_read_b128 a[32:35], v2 offset:2048                      // 0000000081EC: DBFE0800 20000002
	ds_read_b128 a[36:39], v2 offset:2112                      // 0000000081F4: DBFE0840 24000002
	s_add_u32 s60, 0x100, s80                                  // 0000000081FC: 803C50FF 00000100
	s_cmp_lt_u32 s60, s81                                      // 000000008204: BF0A513C
	s_cselect_b32 s83, s83, 0                                  // 000000008208: 85538053
	v_mfma_f32_16x16x32_fp8_fp8 v[108:111], a[118:119], a[86:87], v[108:111]// 00000000820C: D3F3006C 1DB2AD76
	s_add_u32 s24, s58, s24                                    // 000000008214: 8018183A
	s_addc_u32 s25, 0, s25                                     // 000000008218: 82191980
	v_mfma_f32_16x16x32_fp8_fp8 v[112:115], a[112:113], a[88:89], v[112:115]// 00000000821C: D3F30070 1DC2B170
	s_add_u32 s20, s57, s20                                    // 000000008224: 80141439
	s_addc_u32 s21, 0, s21                                     // 000000008228: 82151580
	v_mfma_f32_16x16x32_fp8_fp8 v[112:115], a[114:115], a[90:91], v[112:115]// 00000000822C: D3F30070 1DC2B572
	s_add_u32 s84, s83, s84                                    // 000000008234: 80545453
	s_addc_u32 s85, 0, s85                                     // 000000008238: 82555580
	v_mfma_f32_16x16x32_fp8_fp8 v[112:115], a[116:117], a[92:93], v[112:115]// 00000000823C: D3F30070 1DC2B974
	ds_read_b128 a[40:43], v2 offset:2560                      // 000000008244: DBFE0A00 28000002
	ds_read_b128 a[44:47], v2 offset:2624                      // 00000000824C: DBFE0A40 2C000002
	v_mfma_f32_16x16x32_fp8_fp8 v[112:115], a[118:119], a[94:95], v[112:115]// 000000008254: D3F30070 1DC2BD76
	s_addk_i32 s80, 0x80                                       // 00000000825C: B7500080
	s_cmp_lt_i32 s80, s81                                      // 000000008260: BF045150
	s_cbranch_scc0 label_165E                                  // 000000008264: BF840001
	s_branch label_11B3                                        // 000000008268: BF82FB55

000000000000826c <label_165E>:
	v_mul_f32_dpp v68, v24, v68 row_newbcast:0 row_mask:0xf bank_mask:0xf// 00000000826C: 0A8888FA FF015018
	v_mul_f32_dpp v69, v24, v69 row_newbcast:1 row_mask:0xf bank_mask:0xf// 000000008274: 0A8A8AFA FF015118
	v_mul_f32_dpp v70, v24, v70 row_newbcast:2 row_mask:0xf bank_mask:0xf// 00000000827C: 0A8C8CFA FF015218
	v_mul_f32_dpp v71, v24, v71 row_newbcast:3 row_mask:0xf bank_mask:0xf// 000000008284: 0A8E8EFA FF015318
	v_mul_f32_dpp v72, v24, v72 row_newbcast:0 row_mask:0xf bank_mask:0xf// 00000000828C: 0A9090FA FF015018
	v_mul_f32_dpp v73, v24, v73 row_newbcast:1 row_mask:0xf bank_mask:0xf// 000000008294: 0A9292FA FF015118
	v_mul_f32_dpp v74, v24, v74 row_newbcast:2 row_mask:0xf bank_mask:0xf// 00000000829C: 0A9494FA FF015218
	v_mul_f32_dpp v75, v24, v75 row_newbcast:3 row_mask:0xf bank_mask:0xf// 0000000082A4: 0A9696FA FF015318
	v_mul_f32_dpp v76, v24, v76 row_newbcast:0 row_mask:0xf bank_mask:0xf// 0000000082AC: 0A9898FA FF015018
	v_mul_f32_dpp v77, v24, v77 row_newbcast:1 row_mask:0xf bank_mask:0xf// 0000000082B4: 0A9A9AFA FF015118
	v_mul_f32_dpp v78, v24, v78 row_newbcast:2 row_mask:0xf bank_mask:0xf// 0000000082BC: 0A9C9CFA FF015218
	v_mul_f32_dpp v79, v24, v79 row_newbcast:3 row_mask:0xf bank_mask:0xf// 0000000082C4: 0A9E9EFA FF015318
	v_mul_f32_dpp v80, v24, v80 row_newbcast:0 row_mask:0xf bank_mask:0xf// 0000000082CC: 0AA0A0FA FF015018
	v_mul_f32_dpp v81, v24, v81 row_newbcast:1 row_mask:0xf bank_mask:0xf// 0000000082D4: 0AA2A2FA FF015118
	v_mul_f32_dpp v82, v24, v82 row_newbcast:2 row_mask:0xf bank_mask:0xf// 0000000082DC: 0AA4A4FA FF015218
	v_mul_f32_dpp v83, v24, v83 row_newbcast:3 row_mask:0xf bank_mask:0xf// 0000000082E4: 0AA6A6FA FF015318
	v_mul_f32_dpp v84, v24, v84 row_newbcast:0 row_mask:0xf bank_mask:0xf// 0000000082EC: 0AA8A8FA FF015018
	v_mul_f32_dpp v85, v24, v85 row_newbcast:1 row_mask:0xf bank_mask:0xf// 0000000082F4: 0AAAAAFA FF015118
	v_mul_f32_dpp v86, v24, v86 row_newbcast:2 row_mask:0xf bank_mask:0xf// 0000000082FC: 0AACACFA FF015218
	v_mul_f32_dpp v87, v24, v87 row_newbcast:3 row_mask:0xf bank_mask:0xf// 000000008304: 0AAEAEFA FF015318
	v_mul_f32_dpp v88, v24, v88 row_newbcast:0 row_mask:0xf bank_mask:0xf// 00000000830C: 0AB0B0FA FF015018
	v_mul_f32_dpp v89, v24, v89 row_newbcast:1 row_mask:0xf bank_mask:0xf// 000000008314: 0AB2B2FA FF015118
	v_mul_f32_dpp v90, v24, v90 row_newbcast:2 row_mask:0xf bank_mask:0xf// 00000000831C: 0AB4B4FA FF015218
	v_mul_f32_dpp v91, v24, v91 row_newbcast:3 row_mask:0xf bank_mask:0xf// 000000008324: 0AB6B6FA FF015318
	v_mul_f32_dpp v92, v27, v92 row_newbcast:0 row_mask:0xf bank_mask:0xf// 00000000832C: 0AB8B8FA FF01501B
	v_mul_f32_dpp v93, v27, v93 row_newbcast:1 row_mask:0xf bank_mask:0xf// 000000008334: 0ABABAFA FF01511B
	v_mul_f32_dpp v94, v27, v94 row_newbcast:2 row_mask:0xf bank_mask:0xf// 00000000833C: 0ABCBCFA FF01521B
	v_mul_f32_dpp v95, v27, v95 row_newbcast:3 row_mask:0xf bank_mask:0xf// 000000008344: 0ABEBEFA FF01531B
	v_mul_f32_dpp v96, v27, v96 row_newbcast:0 row_mask:0xf bank_mask:0xf// 00000000834C: 0AC0C0FA FF01501B
	v_mul_f32_dpp v97, v27, v97 row_newbcast:1 row_mask:0xf bank_mask:0xf// 000000008354: 0AC2C2FA FF01511B
	v_mul_f32_dpp v98, v27, v98 row_newbcast:2 row_mask:0xf bank_mask:0xf// 00000000835C: 0AC4C4FA FF01521B
	v_mul_f32_dpp v99, v27, v99 row_newbcast:3 row_mask:0xf bank_mask:0xf// 000000008364: 0AC6C6FA FF01531B
	v_mul_f32_dpp v100, v27, v100 row_newbcast:0 row_mask:0xf bank_mask:0xf// 00000000836C: 0AC8C8FA FF01501B
	v_mul_f32_dpp v101, v27, v101 row_newbcast:1 row_mask:0xf bank_mask:0xf// 000000008374: 0ACACAFA FF01511B
	v_mul_f32_dpp v102, v27, v102 row_newbcast:2 row_mask:0xf bank_mask:0xf// 00000000837C: 0ACCCCFA FF01521B
	v_mul_f32_dpp v103, v27, v103 row_newbcast:3 row_mask:0xf bank_mask:0xf// 000000008384: 0ACECEFA FF01531B
	v_mul_f32_dpp v104, v27, v104 row_newbcast:0 row_mask:0xf bank_mask:0xf// 00000000838C: 0AD0D0FA FF01501B
	v_mul_f32_dpp v105, v27, v105 row_newbcast:1 row_mask:0xf bank_mask:0xf// 000000008394: 0AD2D2FA FF01511B
	v_mul_f32_dpp v106, v27, v106 row_newbcast:2 row_mask:0xf bank_mask:0xf// 00000000839C: 0AD4D4FA FF01521B
	v_mul_f32_dpp v107, v27, v107 row_newbcast:3 row_mask:0xf bank_mask:0xf// 0000000083A4: 0AD6D6FA FF01531B
	v_mul_f32_dpp v108, v27, v108 row_newbcast:0 row_mask:0xf bank_mask:0xf// 0000000083AC: 0AD8D8FA FF01501B
	v_mul_f32_dpp v109, v27, v109 row_newbcast:1 row_mask:0xf bank_mask:0xf// 0000000083B4: 0ADADAFA FF01511B
	v_mul_f32_dpp v110, v27, v110 row_newbcast:2 row_mask:0xf bank_mask:0xf// 0000000083BC: 0ADCDCFA FF01521B
	v_mul_f32_dpp v111, v27, v111 row_newbcast:3 row_mask:0xf bank_mask:0xf// 0000000083C4: 0ADEDEFA FF01531B
	v_mul_f32_dpp v112, v27, v112 row_newbcast:0 row_mask:0xf bank_mask:0xf// 0000000083CC: 0AE0E0FA FF01501B
	v_mul_f32_dpp v113, v27, v113 row_newbcast:1 row_mask:0xf bank_mask:0xf// 0000000083D4: 0AE2E2FA FF01511B
	v_mul_f32_dpp v114, v27, v114 row_newbcast:2 row_mask:0xf bank_mask:0xf// 0000000083DC: 0AE4E4FA FF01521B
	v_mul_f32_dpp v115, v27, v115 row_newbcast:3 row_mask:0xf bank_mask:0xf// 0000000083E4: 0AE6E6FA FF01531B
	v_mov_b32_e32 v4, v36                                      // 0000000083EC: 7E080324
	v_mov_b32_e32 v5, v4                                       // 0000000083F0: 7E0A0304
	v_pk_mul_f32 v[68:69], v[4:5], v[68:69]                    // 0000000083F4: D3B14044 18028904
	v_pk_mul_f32 v[92:93], v[4:5], v[92:93]                    // 0000000083FC: D3B1405C 1802B904
	v_pk_mul_f32 v[70:71], v[4:5], v[70:71]                    // 000000008404: D3B14046 18028D04
	v_pk_mul_f32 v[94:95], v[4:5], v[94:95]                    // 00000000840C: D3B1405E 1802BD04
	v_mov_b32_e32 v4, v37                                      // 000000008414: 7E080325
	v_mov_b32_e32 v5, v4                                       // 000000008418: 7E0A0304
	v_pk_mul_f32 v[72:73], v[4:5], v[72:73]                    // 00000000841C: D3B14048 18029104
	v_pk_mul_f32 v[96:97], v[4:5], v[96:97]                    // 000000008424: D3B14060 1802C104
	v_pk_mul_f32 v[74:75], v[4:5], v[74:75]                    // 00000000842C: D3B1404A 18029504
	v_pk_mul_f32 v[98:99], v[4:5], v[98:99]                    // 000000008434: D3B14062 1802C504
	v_mov_b32_e32 v4, v38                                      // 00000000843C: 7E080326
	v_mov_b32_e32 v5, v4                                       // 000000008440: 7E0A0304
	v_pk_mul_f32 v[76:77], v[4:5], v[76:77]                    // 000000008444: D3B1404C 18029904
	v_pk_mul_f32 v[100:101], v[4:5], v[100:101]                // 00000000844C: D3B14064 1802C904
	v_pk_mul_f32 v[78:79], v[4:5], v[78:79]                    // 000000008454: D3B1404E 18029D04
	v_pk_mul_f32 v[102:103], v[4:5], v[102:103]                // 00000000845C: D3B14066 1802CD04
	v_mov_b32_e32 v4, v39                                      // 000000008464: 7E080327
	v_mov_b32_e32 v5, v4                                       // 000000008468: 7E0A0304
	v_pk_mul_f32 v[80:81], v[4:5], v[80:81]                    // 00000000846C: D3B14050 1802A104
	v_pk_mul_f32 v[104:105], v[4:5], v[104:105]                // 000000008474: D3B14068 1802D104
	v_pk_mul_f32 v[82:83], v[4:5], v[82:83]                    // 00000000847C: D3B14052 1802A504
	v_pk_mul_f32 v[106:107], v[4:5], v[106:107]                // 000000008484: D3B1406A 1802D504
	v_mov_b32_e32 v4, v40                                      // 00000000848C: 7E080328
	v_mov_b32_e32 v5, v4                                       // 000000008490: 7E0A0304
	v_pk_mul_f32 v[84:85], v[4:5], v[84:85]                    // 000000008494: D3B14054 1802A904
	v_pk_mul_f32 v[108:109], v[4:5], v[108:109]                // 00000000849C: D3B1406C 1802D904
	v_pk_mul_f32 v[86:87], v[4:5], v[86:87]                    // 0000000084A4: D3B14056 1802AD04
	v_pk_mul_f32 v[110:111], v[4:5], v[110:111]                // 0000000084AC: D3B1406E 1802DD04
	v_mov_b32_e32 v4, v41                                      // 0000000084B4: 7E080329
	v_mov_b32_e32 v5, v4                                       // 0000000084B8: 7E0A0304
	v_pk_mul_f32 v[88:89], v[4:5], v[88:89]                    // 0000000084BC: D3B14058 1802B104
	v_pk_mul_f32 v[112:113], v[4:5], v[112:113]                // 0000000084C4: D3B14070 1802E104
	v_pk_mul_f32 v[90:91], v[4:5], v[90:91]                    // 0000000084CC: D3B1405A 1802B504
	v_pk_mul_f32 v[114:115], v[4:5], v[114:115]                // 0000000084D4: D3B14072 1802E504
	s_cmp_eq_u32 s88, 0                                        // 0000000084DC: BF068058
	s_cbranch_scc0 label_1B79                                  // 0000000084E0: BF84047D
	s_cmp_eq_u32 s89, 0                                        // 0000000084E4: BF068059
	s_cbranch_scc1 label_17F3                                  // 0000000084E8: BF8500F5
	v_mov_b32_e32 v8, v1                                       // 0000000084EC: 7E100301
	v_mov_b32_e32 v9, v1                                       // 0000000084F0: 7E120301
	s_mov_b32 s60, s6                                          // 0000000084F4: BEBC0006
	s_mov_b32 s61, s6                                          // 0000000084F8: BEBD0006
	v_pk_mul_f32 v[4:5], v[68:69], v[68:69]                    // 0000000084FC: D3B14004 18028944
	v_pk_mul_f32 v[6:7], v[70:71], v[70:71]                    // 000000008504: D3B14006 18028D46
	v_pk_fma_f32 v[4:5], v[4:5], s[78:79], v[8:9]              // 00000000850C: D3B04004 1C209D04
	v_pk_fma_f32 v[6:7], v[6:7], s[78:79], v[8:9]              // 000000008514: D3B04006 1C209D06
	v_pk_mul_f32 v[4:5], v[4:5], v[68:69]                      // 00000000851C: D3B14004 18028904
	v_pk_mul_f32 v[6:7], v[6:7], v[70:71]                      // 000000008524: D3B14006 18028D06
	v_pk_mul_f32 v[4:5], v[4:5], s[60:61]                      // 00000000852C: D3B14004 18007904
	v_pk_mul_f32 v[6:7], v[6:7], s[60:61]                      // 000000008534: D3B14006 18007906
	v_exp_f32_e32 v4, v4                                       // 00000000853C: 7E084104
	v_exp_f32_e32 v5, v5                                       // 000000008540: 7E0A4105
	v_exp_f32_e32 v6, v6                                       // 000000008544: 7E0C4106
	v_exp_f32_e32 v7, v7                                       // 000000008548: 7E0E4107
	v_add_f32_e64 v4, v4, 1.0                                  // 00000000854C: D1010004 0001E504
	v_add_f32_e64 v5, v5, 1.0                                  // 000000008554: D1010005 0001E505
	v_add_f32_e64 v6, v6, 1.0                                  // 00000000855C: D1010006 0001E506
	v_add_f32_e64 v7, v7, 1.0                                  // 000000008564: D1010007 0001E507
	v_rcp_f32_e32 v4, v4                                       // 00000000856C: 7E084504
	v_rcp_f32_e32 v5, v5                                       // 000000008570: 7E0A4505
	v_rcp_f32_e32 v6, v6                                       // 000000008574: 7E0C4506
	v_rcp_f32_e32 v7, v7                                       // 000000008578: 7E0E4507
	v_mul_f32_e32 v68, v68, v4                                 // 00000000857C: 0A880944
	v_mul_f32_e32 v69, v69, v5                                 // 000000008580: 0A8A0B45
	v_mul_f32_e32 v70, v70, v6                                 // 000000008584: 0A8C0D46
	v_mul_f32_e32 v71, v71, v7                                 // 000000008588: 0A8E0F47
	v_mul_f32_e32 v68, v68, v92                                // 00000000858C: 0A88B944
	v_mul_f32_e32 v69, v69, v93                                // 000000008590: 0A8ABB45
	v_mul_f32_e32 v70, v70, v94                                // 000000008594: 0A8CBD46
	v_mul_f32_e32 v71, v71, v95                                // 000000008598: 0A8EBF47
	v_pk_mul_f32 v[4:5], v[72:73], v[72:73]                    // 00000000859C: D3B14004 18029148
	v_pk_mul_f32 v[6:7], v[74:75], v[74:75]                    // 0000000085A4: D3B14006 1802954A
	v_pk_fma_f32 v[4:5], v[4:5], s[78:79], v[8:9]              // 0000000085AC: D3B04004 1C209D04
	v_pk_fma_f32 v[6:7], v[6:7], s[78:79], v[8:9]              // 0000000085B4: D3B04006 1C209D06
	v_pk_mul_f32 v[4:5], v[4:5], v[72:73]                      // 0000000085BC: D3B14004 18029104
	v_pk_mul_f32 v[6:7], v[6:7], v[74:75]                      // 0000000085C4: D3B14006 18029506
	v_pk_mul_f32 v[4:5], v[4:5], s[60:61]                      // 0000000085CC: D3B14004 18007904
	v_pk_mul_f32 v[6:7], v[6:7], s[60:61]                      // 0000000085D4: D3B14006 18007906
	v_exp_f32_e32 v4, v4                                       // 0000000085DC: 7E084104
	v_exp_f32_e32 v5, v5                                       // 0000000085E0: 7E0A4105
	v_exp_f32_e32 v6, v6                                       // 0000000085E4: 7E0C4106
	v_exp_f32_e32 v7, v7                                       // 0000000085E8: 7E0E4107
	v_add_f32_e64 v4, v4, 1.0                                  // 0000000085EC: D1010004 0001E504
	v_add_f32_e64 v5, v5, 1.0                                  // 0000000085F4: D1010005 0001E505
	v_add_f32_e64 v6, v6, 1.0                                  // 0000000085FC: D1010006 0001E506
	v_add_f32_e64 v7, v7, 1.0                                  // 000000008604: D1010007 0001E507
	v_rcp_f32_e32 v4, v4                                       // 00000000860C: 7E084504
	v_rcp_f32_e32 v5, v5                                       // 000000008610: 7E0A4505
	v_rcp_f32_e32 v6, v6                                       // 000000008614: 7E0C4506
	v_rcp_f32_e32 v7, v7                                       // 000000008618: 7E0E4507
	v_mul_f32_e32 v72, v72, v4                                 // 00000000861C: 0A900948
	v_mul_f32_e32 v73, v73, v5                                 // 000000008620: 0A920B49
	v_mul_f32_e32 v74, v74, v6                                 // 000000008624: 0A940D4A
	v_mul_f32_e32 v75, v75, v7                                 // 000000008628: 0A960F4B
	v_mul_f32_e32 v72, v72, v96                                // 00000000862C: 0A90C148
	v_mul_f32_e32 v73, v73, v97                                // 000000008630: 0A92C349
	v_mul_f32_e32 v74, v74, v98                                // 000000008634: 0A94C54A
	v_mul_f32_e32 v75, v75, v99                                // 000000008638: 0A96C74B
	v_pk_mul_f32 v[4:5], v[76:77], v[76:77]                    // 00000000863C: D3B14004 1802994C
	v_pk_mul_f32 v[6:7], v[78:79], v[78:79]                    // 000000008644: D3B14006 18029D4E
	v_pk_fma_f32 v[4:5], v[4:5], s[78:79], v[8:9]              // 00000000864C: D3B04004 1C209D04
	v_pk_fma_f32 v[6:7], v[6:7], s[78:79], v[8:9]              // 000000008654: D3B04006 1C209D06
	v_pk_mul_f32 v[4:5], v[4:5], v[76:77]                      // 00000000865C: D3B14004 18029904
	v_pk_mul_f32 v[6:7], v[6:7], v[78:79]                      // 000000008664: D3B14006 18029D06
	v_pk_mul_f32 v[4:5], v[4:5], s[60:61]                      // 00000000866C: D3B14004 18007904
	v_pk_mul_f32 v[6:7], v[6:7], s[60:61]                      // 000000008674: D3B14006 18007906
	v_exp_f32_e32 v4, v4                                       // 00000000867C: 7E084104
	v_exp_f32_e32 v5, v5                                       // 000000008680: 7E0A4105
	v_exp_f32_e32 v6, v6                                       // 000000008684: 7E0C4106
	v_exp_f32_e32 v7, v7                                       // 000000008688: 7E0E4107
	v_add_f32_e64 v4, v4, 1.0                                  // 00000000868C: D1010004 0001E504
	v_add_f32_e64 v5, v5, 1.0                                  // 000000008694: D1010005 0001E505
	v_add_f32_e64 v6, v6, 1.0                                  // 00000000869C: D1010006 0001E506
	v_add_f32_e64 v7, v7, 1.0                                  // 0000000086A4: D1010007 0001E507
	v_rcp_f32_e32 v4, v4                                       // 0000000086AC: 7E084504
	v_rcp_f32_e32 v5, v5                                       // 0000000086B0: 7E0A4505
	v_rcp_f32_e32 v6, v6                                       // 0000000086B4: 7E0C4506
	v_rcp_f32_e32 v7, v7                                       // 0000000086B8: 7E0E4507
	v_mul_f32_e32 v76, v76, v4                                 // 0000000086BC: 0A98094C
	v_mul_f32_e32 v77, v77, v5                                 // 0000000086C0: 0A9A0B4D
	v_mul_f32_e32 v78, v78, v6                                 // 0000000086C4: 0A9C0D4E
	v_mul_f32_e32 v79, v79, v7                                 // 0000000086C8: 0A9E0F4F
	v_mul_f32_e32 v76, v76, v100                               // 0000000086CC: 0A98C94C
	v_mul_f32_e32 v77, v77, v101                               // 0000000086D0: 0A9ACB4D
	v_mul_f32_e32 v78, v78, v102                               // 0000000086D4: 0A9CCD4E
	v_mul_f32_e32 v79, v79, v103                               // 0000000086D8: 0A9ECF4F
	v_pk_mul_f32 v[4:5], v[80:81], v[80:81]                    // 0000000086DC: D3B14004 1802A150
	v_pk_mul_f32 v[6:7], v[82:83], v[82:83]                    // 0000000086E4: D3B14006 1802A552
	v_pk_fma_f32 v[4:5], v[4:5], s[78:79], v[8:9]              // 0000000086EC: D3B04004 1C209D04
	v_pk_fma_f32 v[6:7], v[6:7], s[78:79], v[8:9]              // 0000000086F4: D3B04006 1C209D06
	v_pk_mul_f32 v[4:5], v[4:5], v[80:81]                      // 0000000086FC: D3B14004 1802A104
	v_pk_mul_f32 v[6:7], v[6:7], v[82:83]                      // 000000008704: D3B14006 1802A506
	v_pk_mul_f32 v[4:5], v[4:5], s[60:61]                      // 00000000870C: D3B14004 18007904
	v_pk_mul_f32 v[6:7], v[6:7], s[60:61]                      // 000000008714: D3B14006 18007906
	v_exp_f32_e32 v4, v4                                       // 00000000871C: 7E084104
	v_exp_f32_e32 v5, v5                                       // 000000008720: 7E0A4105
	v_exp_f32_e32 v6, v6                                       // 000000008724: 7E0C4106
	v_exp_f32_e32 v7, v7                                       // 000000008728: 7E0E4107
	v_add_f32_e64 v4, v4, 1.0                                  // 00000000872C: D1010004 0001E504
	v_add_f32_e64 v5, v5, 1.0                                  // 000000008734: D1010005 0001E505
	v_add_f32_e64 v6, v6, 1.0                                  // 00000000873C: D1010006 0001E506
	v_add_f32_e64 v7, v7, 1.0                                  // 000000008744: D1010007 0001E507
	v_rcp_f32_e32 v4, v4                                       // 00000000874C: 7E084504
	v_rcp_f32_e32 v5, v5                                       // 000000008750: 7E0A4505
	v_rcp_f32_e32 v6, v6                                       // 000000008754: 7E0C4506
	v_rcp_f32_e32 v7, v7                                       // 000000008758: 7E0E4507
	v_mul_f32_e32 v80, v80, v4                                 // 00000000875C: 0AA00950
	v_mul_f32_e32 v81, v81, v5                                 // 000000008760: 0AA20B51
	v_mul_f32_e32 v82, v82, v6                                 // 000000008764: 0AA40D52
	v_mul_f32_e32 v83, v83, v7                                 // 000000008768: 0AA60F53
	v_mul_f32_e32 v80, v80, v104                               // 00000000876C: 0AA0D150
	v_mul_f32_e32 v81, v81, v105                               // 000000008770: 0AA2D351
	v_mul_f32_e32 v82, v82, v106                               // 000000008774: 0AA4D552
	v_mul_f32_e32 v83, v83, v107                               // 000000008778: 0AA6D753
	v_pk_mul_f32 v[4:5], v[84:85], v[84:85]                    // 00000000877C: D3B14004 1802A954
	v_pk_mul_f32 v[6:7], v[86:87], v[86:87]                    // 000000008784: D3B14006 1802AD56
	v_pk_fma_f32 v[4:5], v[4:5], s[78:79], v[8:9]              // 00000000878C: D3B04004 1C209D04
	v_pk_fma_f32 v[6:7], v[6:7], s[78:79], v[8:9]              // 000000008794: D3B04006 1C209D06
	v_pk_mul_f32 v[4:5], v[4:5], v[84:85]                      // 00000000879C: D3B14004 1802A904
	v_pk_mul_f32 v[6:7], v[6:7], v[86:87]                      // 0000000087A4: D3B14006 1802AD06
	v_pk_mul_f32 v[4:5], v[4:5], s[60:61]                      // 0000000087AC: D3B14004 18007904
	v_pk_mul_f32 v[6:7], v[6:7], s[60:61]                      // 0000000087B4: D3B14006 18007906
	v_exp_f32_e32 v4, v4                                       // 0000000087BC: 7E084104
	v_exp_f32_e32 v5, v5                                       // 0000000087C0: 7E0A4105
	v_exp_f32_e32 v6, v6                                       // 0000000087C4: 7E0C4106
	v_exp_f32_e32 v7, v7                                       // 0000000087C8: 7E0E4107
	v_add_f32_e64 v4, v4, 1.0                                  // 0000000087CC: D1010004 0001E504
	v_add_f32_e64 v5, v5, 1.0                                  // 0000000087D4: D1010005 0001E505
	v_add_f32_e64 v6, v6, 1.0                                  // 0000000087DC: D1010006 0001E506
	v_add_f32_e64 v7, v7, 1.0                                  // 0000000087E4: D1010007 0001E507
	v_rcp_f32_e32 v4, v4                                       // 0000000087EC: 7E084504
	v_rcp_f32_e32 v5, v5                                       // 0000000087F0: 7E0A4505
	v_rcp_f32_e32 v6, v6                                       // 0000000087F4: 7E0C4506
	v_rcp_f32_e32 v7, v7                                       // 0000000087F8: 7E0E4507
	v_mul_f32_e32 v84, v84, v4                                 // 0000000087FC: 0AA80954
	v_mul_f32_e32 v85, v85, v5                                 // 000000008800: 0AAA0B55
	v_mul_f32_e32 v86, v86, v6                                 // 000000008804: 0AAC0D56
	v_mul_f32_e32 v87, v87, v7                                 // 000000008808: 0AAE0F57
	v_mul_f32_e32 v84, v84, v108                               // 00000000880C: 0AA8D954
	v_mul_f32_e32 v85, v85, v109                               // 000000008810: 0AAADB55
	v_mul_f32_e32 v86, v86, v110                               // 000000008814: 0AACDD56
	v_mul_f32_e32 v87, v87, v111                               // 000000008818: 0AAEDF57
	v_pk_mul_f32 v[4:5], v[88:89], v[88:89]                    // 00000000881C: D3B14004 1802B158
	v_pk_mul_f32 v[6:7], v[90:91], v[90:91]                    // 000000008824: D3B14006 1802B55A
	v_pk_fma_f32 v[4:5], v[4:5], s[78:79], v[8:9]              // 00000000882C: D3B04004 1C209D04
	v_pk_fma_f32 v[6:7], v[6:7], s[78:79], v[8:9]              // 000000008834: D3B04006 1C209D06
	v_pk_mul_f32 v[4:5], v[4:5], v[88:89]                      // 00000000883C: D3B14004 1802B104
	v_pk_mul_f32 v[6:7], v[6:7], v[90:91]                      // 000000008844: D3B14006 1802B506
	v_pk_mul_f32 v[4:5], v[4:5], s[60:61]                      // 00000000884C: D3B14004 18007904
	v_pk_mul_f32 v[6:7], v[6:7], s[60:61]                      // 000000008854: D3B14006 18007906
	v_exp_f32_e32 v4, v4                                       // 00000000885C: 7E084104
	v_exp_f32_e32 v5, v5                                       // 000000008860: 7E0A4105
	v_exp_f32_e32 v6, v6                                       // 000000008864: 7E0C4106
	v_exp_f32_e32 v7, v7                                       // 000000008868: 7E0E4107
	v_add_f32_e64 v4, v4, 1.0                                  // 00000000886C: D1010004 0001E504
	v_add_f32_e64 v5, v5, 1.0                                  // 000000008874: D1010005 0001E505
	v_add_f32_e64 v6, v6, 1.0                                  // 00000000887C: D1010006 0001E506
	v_add_f32_e64 v7, v7, 1.0                                  // 000000008884: D1010007 0001E507
	v_rcp_f32_e32 v4, v4                                       // 00000000888C: 7E084504
	v_rcp_f32_e32 v5, v5                                       // 000000008890: 7E0A4505
	v_rcp_f32_e32 v6, v6                                       // 000000008894: 7E0C4506
	v_rcp_f32_e32 v7, v7                                       // 000000008898: 7E0E4507
	v_mul_f32_e32 v88, v88, v4                                 // 00000000889C: 0AB00958
	v_mul_f32_e32 v89, v89, v5                                 // 0000000088A0: 0AB20B59
	v_mul_f32_e32 v90, v90, v6                                 // 0000000088A4: 0AB40D5A
	v_mul_f32_e32 v91, v91, v7                                 // 0000000088A8: 0AB60F5B
	v_mul_f32_e32 v88, v88, v112                               // 0000000088AC: 0AB0E158
	v_mul_f32_e32 v89, v89, v113                               // 0000000088B0: 0AB2E359
	v_mul_f32_e32 v90, v90, v114                               // 0000000088B4: 0AB4E55A
	v_mul_f32_e32 v91, v91, v115                               // 0000000088B8: 0AB6E75B
	s_branch label_18B3                                        // 0000000088BC: BF8200C0

00000000000088c0 <label_17F3>:
	v_mul_f32_e64 v4, -v68, s6                                 // 0000000088C0: D1050004 20000D44
	v_mul_f32_e64 v5, -v69, s6                                 // 0000000088C8: D1050005 20000D45
	v_mul_f32_e64 v6, -v70, s6                                 // 0000000088D0: D1050006 20000D46
	v_mul_f32_e64 v7, -v71, s6                                 // 0000000088D8: D1050007 20000D47
	v_exp_f32_e32 v4, v4                                       // 0000000088E0: 7E084104
	v_exp_f32_e32 v5, v5                                       // 0000000088E4: 7E0A4105
	v_exp_f32_e32 v6, v6                                       // 0000000088E8: 7E0C4106
	v_exp_f32_e32 v7, v7                                       // 0000000088EC: 7E0E4107
	v_add_f32_e64 v4, v4, 1.0                                  // 0000000088F0: D1010004 0001E504
	v_add_f32_e64 v5, v5, 1.0                                  // 0000000088F8: D1010005 0001E505
	v_add_f32_e64 v6, v6, 1.0                                  // 000000008900: D1010006 0001E506
	v_add_f32_e64 v7, v7, 1.0                                  // 000000008908: D1010007 0001E507
	v_rcp_f32_e32 v4, v4                                       // 000000008910: 7E084504
	v_rcp_f32_e32 v5, v5                                       // 000000008914: 7E0A4505
	v_rcp_f32_e32 v6, v6                                       // 000000008918: 7E0C4506
	v_rcp_f32_e32 v7, v7                                       // 00000000891C: 7E0E4507
	v_mul_f32_e32 v68, v68, v4                                 // 000000008920: 0A880944
	v_mul_f32_e32 v69, v69, v5                                 // 000000008924: 0A8A0B45
	v_mul_f32_e32 v70, v70, v6                                 // 000000008928: 0A8C0D46
	v_mul_f32_e32 v71, v71, v7                                 // 00000000892C: 0A8E0F47
	v_mul_f32_e32 v68, v68, v92                                // 000000008930: 0A88B944
	v_mul_f32_e32 v69, v69, v93                                // 000000008934: 0A8ABB45
	v_mul_f32_e32 v70, v70, v94                                // 000000008938: 0A8CBD46
	v_mul_f32_e32 v71, v71, v95                                // 00000000893C: 0A8EBF47
	v_mul_f32_e64 v4, -v72, s6                                 // 000000008940: D1050004 20000D48
	v_mul_f32_e64 v5, -v73, s6                                 // 000000008948: D1050005 20000D49
	v_mul_f32_e64 v6, -v74, s6                                 // 000000008950: D1050006 20000D4A
	v_mul_f32_e64 v7, -v75, s6                                 // 000000008958: D1050007 20000D4B
	v_exp_f32_e32 v4, v4                                       // 000000008960: 7E084104
	v_exp_f32_e32 v5, v5                                       // 000000008964: 7E0A4105
	v_exp_f32_e32 v6, v6                                       // 000000008968: 7E0C4106
	v_exp_f32_e32 v7, v7                                       // 00000000896C: 7E0E4107
	v_add_f32_e64 v4, v4, 1.0                                  // 000000008970: D1010004 0001E504
	v_add_f32_e64 v5, v5, 1.0                                  // 000000008978: D1010005 0001E505
	v_add_f32_e64 v6, v6, 1.0                                  // 000000008980: D1010006 0001E506
	v_add_f32_e64 v7, v7, 1.0                                  // 000000008988: D1010007 0001E507
	v_rcp_f32_e32 v4, v4                                       // 000000008990: 7E084504
	v_rcp_f32_e32 v5, v5                                       // 000000008994: 7E0A4505
	v_rcp_f32_e32 v6, v6                                       // 000000008998: 7E0C4506
	v_rcp_f32_e32 v7, v7                                       // 00000000899C: 7E0E4507
	v_mul_f32_e32 v72, v72, v4                                 // 0000000089A0: 0A900948
	v_mul_f32_e32 v73, v73, v5                                 // 0000000089A4: 0A920B49
	v_mul_f32_e32 v74, v74, v6                                 // 0000000089A8: 0A940D4A
	v_mul_f32_e32 v75, v75, v7                                 // 0000000089AC: 0A960F4B
	v_mul_f32_e32 v72, v72, v96                                // 0000000089B0: 0A90C148
	v_mul_f32_e32 v73, v73, v97                                // 0000000089B4: 0A92C349
	v_mul_f32_e32 v74, v74, v98                                // 0000000089B8: 0A94C54A
	v_mul_f32_e32 v75, v75, v99                                // 0000000089BC: 0A96C74B
	v_mul_f32_e64 v4, -v76, s6                                 // 0000000089C0: D1050004 20000D4C
	v_mul_f32_e64 v5, -v77, s6                                 // 0000000089C8: D1050005 20000D4D
	v_mul_f32_e64 v6, -v78, s6                                 // 0000000089D0: D1050006 20000D4E
	v_mul_f32_e64 v7, -v79, s6                                 // 0000000089D8: D1050007 20000D4F
	v_exp_f32_e32 v4, v4                                       // 0000000089E0: 7E084104
	v_exp_f32_e32 v5, v5                                       // 0000000089E4: 7E0A4105
	v_exp_f32_e32 v6, v6                                       // 0000000089E8: 7E0C4106
	v_exp_f32_e32 v7, v7                                       // 0000000089EC: 7E0E4107
	v_add_f32_e64 v4, v4, 1.0                                  // 0000000089F0: D1010004 0001E504
	v_add_f32_e64 v5, v5, 1.0                                  // 0000000089F8: D1010005 0001E505
	v_add_f32_e64 v6, v6, 1.0                                  // 000000008A00: D1010006 0001E506
	v_add_f32_e64 v7, v7, 1.0                                  // 000000008A08: D1010007 0001E507
	v_rcp_f32_e32 v4, v4                                       // 000000008A10: 7E084504
	v_rcp_f32_e32 v5, v5                                       // 000000008A14: 7E0A4505
	v_rcp_f32_e32 v6, v6                                       // 000000008A18: 7E0C4506
	v_rcp_f32_e32 v7, v7                                       // 000000008A1C: 7E0E4507
	v_mul_f32_e32 v76, v76, v4                                 // 000000008A20: 0A98094C
	v_mul_f32_e32 v77, v77, v5                                 // 000000008A24: 0A9A0B4D
	v_mul_f32_e32 v78, v78, v6                                 // 000000008A28: 0A9C0D4E
	v_mul_f32_e32 v79, v79, v7                                 // 000000008A2C: 0A9E0F4F
	v_mul_f32_e32 v76, v76, v100                               // 000000008A30: 0A98C94C
	v_mul_f32_e32 v77, v77, v101                               // 000000008A34: 0A9ACB4D
	v_mul_f32_e32 v78, v78, v102                               // 000000008A38: 0A9CCD4E
	v_mul_f32_e32 v79, v79, v103                               // 000000008A3C: 0A9ECF4F
	v_mul_f32_e64 v4, -v80, s6                                 // 000000008A40: D1050004 20000D50
	v_mul_f32_e64 v5, -v81, s6                                 // 000000008A48: D1050005 20000D51
	v_mul_f32_e64 v6, -v82, s6                                 // 000000008A50: D1050006 20000D52
	v_mul_f32_e64 v7, -v83, s6                                 // 000000008A58: D1050007 20000D53
	v_exp_f32_e32 v4, v4                                       // 000000008A60: 7E084104
	v_exp_f32_e32 v5, v5                                       // 000000008A64: 7E0A4105
	v_exp_f32_e32 v6, v6                                       // 000000008A68: 7E0C4106
	v_exp_f32_e32 v7, v7                                       // 000000008A6C: 7E0E4107
	v_add_f32_e64 v4, v4, 1.0                                  // 000000008A70: D1010004 0001E504
	v_add_f32_e64 v5, v5, 1.0                                  // 000000008A78: D1010005 0001E505
	v_add_f32_e64 v6, v6, 1.0                                  // 000000008A80: D1010006 0001E506
	v_add_f32_e64 v7, v7, 1.0                                  // 000000008A88: D1010007 0001E507
	v_rcp_f32_e32 v4, v4                                       // 000000008A90: 7E084504
	v_rcp_f32_e32 v5, v5                                       // 000000008A94: 7E0A4505
	v_rcp_f32_e32 v6, v6                                       // 000000008A98: 7E0C4506
	v_rcp_f32_e32 v7, v7                                       // 000000008A9C: 7E0E4507
	v_mul_f32_e32 v80, v80, v4                                 // 000000008AA0: 0AA00950
	v_mul_f32_e32 v81, v81, v5                                 // 000000008AA4: 0AA20B51
	v_mul_f32_e32 v82, v82, v6                                 // 000000008AA8: 0AA40D52
	v_mul_f32_e32 v83, v83, v7                                 // 000000008AAC: 0AA60F53
	v_mul_f32_e32 v80, v80, v104                               // 000000008AB0: 0AA0D150
	v_mul_f32_e32 v81, v81, v105                               // 000000008AB4: 0AA2D351
	v_mul_f32_e32 v82, v82, v106                               // 000000008AB8: 0AA4D552
	v_mul_f32_e32 v83, v83, v107                               // 000000008ABC: 0AA6D753
	v_mul_f32_e64 v4, -v84, s6                                 // 000000008AC0: D1050004 20000D54
	v_mul_f32_e64 v5, -v85, s6                                 // 000000008AC8: D1050005 20000D55
	v_mul_f32_e64 v6, -v86, s6                                 // 000000008AD0: D1050006 20000D56
	v_mul_f32_e64 v7, -v87, s6                                 // 000000008AD8: D1050007 20000D57
	v_exp_f32_e32 v4, v4                                       // 000000008AE0: 7E084104
	v_exp_f32_e32 v5, v5                                       // 000000008AE4: 7E0A4105
	v_exp_f32_e32 v6, v6                                       // 000000008AE8: 7E0C4106
	v_exp_f32_e32 v7, v7                                       // 000000008AEC: 7E0E4107
	v_add_f32_e64 v4, v4, 1.0                                  // 000000008AF0: D1010004 0001E504
	v_add_f32_e64 v5, v5, 1.0                                  // 000000008AF8: D1010005 0001E505
	v_add_f32_e64 v6, v6, 1.0                                  // 000000008B00: D1010006 0001E506
	v_add_f32_e64 v7, v7, 1.0                                  // 000000008B08: D1010007 0001E507
	v_rcp_f32_e32 v4, v4                                       // 000000008B10: 7E084504
	v_rcp_f32_e32 v5, v5                                       // 000000008B14: 7E0A4505
	v_rcp_f32_e32 v6, v6                                       // 000000008B18: 7E0C4506
	v_rcp_f32_e32 v7, v7                                       // 000000008B1C: 7E0E4507
	v_mul_f32_e32 v84, v84, v4                                 // 000000008B20: 0AA80954
	v_mul_f32_e32 v85, v85, v5                                 // 000000008B24: 0AAA0B55
	v_mul_f32_e32 v86, v86, v6                                 // 000000008B28: 0AAC0D56
	v_mul_f32_e32 v87, v87, v7                                 // 000000008B2C: 0AAE0F57
	v_mul_f32_e32 v84, v84, v108                               // 000000008B30: 0AA8D954
	v_mul_f32_e32 v85, v85, v109                               // 000000008B34: 0AAADB55
	v_mul_f32_e32 v86, v86, v110                               // 000000008B38: 0AACDD56
	v_mul_f32_e32 v87, v87, v111                               // 000000008B3C: 0AAEDF57
	v_mul_f32_e64 v4, -v88, s6                                 // 000000008B40: D1050004 20000D58
	v_mul_f32_e64 v5, -v89, s6                                 // 000000008B48: D1050005 20000D59
	v_mul_f32_e64 v6, -v90, s6                                 // 000000008B50: D1050006 20000D5A
	v_mul_f32_e64 v7, -v91, s6                                 // 000000008B58: D1050007 20000D5B
	v_exp_f32_e32 v4, v4                                       // 000000008B60: 7E084104
	v_exp_f32_e32 v5, v5                                       // 000000008B64: 7E0A4105
	v_exp_f32_e32 v6, v6                                       // 000000008B68: 7E0C4106
	v_exp_f32_e32 v7, v7                                       // 000000008B6C: 7E0E4107
	v_add_f32_e64 v4, v4, 1.0                                  // 000000008B70: D1010004 0001E504
	v_add_f32_e64 v5, v5, 1.0                                  // 000000008B78: D1010005 0001E505
	v_add_f32_e64 v6, v6, 1.0                                  // 000000008B80: D1010006 0001E506
	v_add_f32_e64 v7, v7, 1.0                                  // 000000008B88: D1010007 0001E507
	v_rcp_f32_e32 v4, v4                                       // 000000008B90: 7E084504
	v_rcp_f32_e32 v5, v5                                       // 000000008B94: 7E0A4505
	v_rcp_f32_e32 v6, v6                                       // 000000008B98: 7E0C4506
	v_rcp_f32_e32 v7, v7                                       // 000000008B9C: 7E0E4507
	v_mul_f32_e32 v88, v88, v4                                 // 000000008BA0: 0AB00958
	v_mul_f32_e32 v89, v89, v5                                 // 000000008BA4: 0AB20B59
	v_mul_f32_e32 v90, v90, v6                                 // 000000008BA8: 0AB40D5A
	v_mul_f32_e32 v91, v91, v7                                 // 000000008BAC: 0AB60F5B
	v_mul_f32_e32 v88, v88, v112                               // 000000008BB0: 0AB0E158
	v_mul_f32_e32 v89, v89, v113                               // 000000008BB4: 0AB2E359
	v_mul_f32_e32 v90, v90, v114                               // 000000008BB8: 0AB4E55A
	v_mul_f32_e32 v91, v91, v115                               // 000000008BBC: 0AB6E75B

0000000000008bc0 <label_18B3>:
	v_cmp_u_f32_e64 s[46:47], v68, v68                         // 000000008BC0: D048002E 00028944
	v_add3_u32 v16, v68, v19, 1                                // 000000008BC8: D1FF0010 02062744
	v_cndmask_b32_e64 v4, v16, v18, s[46:47]                   // 000000008BD0: D1000004 00BA2510
	v_cmp_u_f32_e64 s[46:47], v69, v69                         // 000000008BD8: D048002E 00028B45
	v_add3_u32 v16, v69, v19, 1                                // 000000008BE0: D1FF0010 02062745
	v_cndmask_b32_e64 v5, v16, v18, s[46:47]                   // 000000008BE8: D1000005 00BA2510
	v_perm_b32 v68, v5, v4, s52                                // 000000008BF0: D1ED0044 00D20905
	v_cmp_u_f32_e64 s[46:47], v70, v70                         // 000000008BF8: D048002E 00028D46
	v_add3_u32 v16, v70, v19, 1                                // 000000008C00: D1FF0010 02062746
	v_cndmask_b32_e64 v4, v16, v18, s[46:47]                   // 000000008C08: D1000004 00BA2510
	v_cmp_u_f32_e64 s[46:47], v71, v71                         // 000000008C10: D048002E 00028F47
	v_add3_u32 v16, v71, v19, 1                                // 000000008C18: D1FF0010 02062747
	v_cndmask_b32_e64 v5, v16, v18, s[46:47]                   // 000000008C20: D1000005 00BA2510
	v_perm_b32 v69, v5, v4, s52                                // 000000008C28: D1ED0045 00D20905
	v_cmp_u_f32_e64 s[46:47], v72, v72                         // 000000008C30: D048002E 00029148
	v_add3_u32 v16, v72, v19, 1                                // 000000008C38: D1FF0010 02062748
	v_cndmask_b32_e64 v4, v16, v18, s[46:47]                   // 000000008C40: D1000004 00BA2510
	v_cmp_u_f32_e64 s[46:47], v73, v73                         // 000000008C48: D048002E 00029349
	v_add3_u32 v16, v73, v19, 1                                // 000000008C50: D1FF0010 02062749
	v_cndmask_b32_e64 v5, v16, v18, s[46:47]                   // 000000008C58: D1000005 00BA2510
	v_perm_b32 v70, v5, v4, s52                                // 000000008C60: D1ED0046 00D20905
	v_cmp_u_f32_e64 s[46:47], v74, v74                         // 000000008C68: D048002E 0002954A
	v_add3_u32 v16, v74, v19, 1                                // 000000008C70: D1FF0010 0206274A
	v_cndmask_b32_e64 v4, v16, v18, s[46:47]                   // 000000008C78: D1000004 00BA2510
	v_cmp_u_f32_e64 s[46:47], v75, v75                         // 000000008C80: D048002E 0002974B
	v_add3_u32 v16, v75, v19, 1                                // 000000008C88: D1FF0010 0206274B
	v_cndmask_b32_e64 v5, v16, v18, s[46:47]                   // 000000008C90: D1000005 00BA2510
	v_perm_b32 v71, v5, v4, s52                                // 000000008C98: D1ED0047 00D20905
	v_cmp_u_f32_e64 s[46:47], v76, v76                         // 000000008CA0: D048002E 0002994C
	v_add3_u32 v16, v76, v19, 1                                // 000000008CA8: D1FF0010 0206274C
	v_cndmask_b32_e64 v4, v16, v18, s[46:47]                   // 000000008CB0: D1000004 00BA2510
	v_cmp_u_f32_e64 s[46:47], v77, v77                         // 000000008CB8: D048002E 00029B4D
	v_add3_u32 v16, v77, v19, 1                                // 000000008CC0: D1FF0010 0206274D
	v_cndmask_b32_e64 v5, v16, v18, s[46:47]                   // 000000008CC8: D1000005 00BA2510
	v_perm_b32 v72, v5, v4, s52                                // 000000008CD0: D1ED0048 00D20905
	v_cmp_u_f32_e64 s[46:47], v78, v78                         // 000000008CD8: D048002E 00029D4E
	v_add3_u32 v16, v78, v19, 1                                // 000000008CE0: D1FF0010 0206274E
	v_cndmask_b32_e64 v4, v16, v18, s[46:47]                   // 000000008CE8: D1000004 00BA2510
	v_cmp_u_f32_e64 s[46:47], v79, v79                         // 000000008CF0: D048002E 00029F4F
	v_add3_u32 v16, v79, v19, 1                                // 000000008CF8: D1FF0010 0206274F
	v_cndmask_b32_e64 v5, v16, v18, s[46:47]                   // 000000008D00: D1000005 00BA2510
	v_perm_b32 v73, v5, v4, s52                                // 000000008D08: D1ED0049 00D20905
	v_cmp_u_f32_e64 s[46:47], v80, v80                         // 000000008D10: D048002E 0002A150
	v_add3_u32 v16, v80, v19, 1                                // 000000008D18: D1FF0010 02062750
	v_cndmask_b32_e64 v4, v16, v18, s[46:47]                   // 000000008D20: D1000004 00BA2510
	v_cmp_u_f32_e64 s[46:47], v81, v81                         // 000000008D28: D048002E 0002A351
	v_add3_u32 v16, v81, v19, 1                                // 000000008D30: D1FF0010 02062751
	v_cndmask_b32_e64 v5, v16, v18, s[46:47]                   // 000000008D38: D1000005 00BA2510
	v_perm_b32 v74, v5, v4, s52                                // 000000008D40: D1ED004A 00D20905
	v_cmp_u_f32_e64 s[46:47], v82, v82                         // 000000008D48: D048002E 0002A552
	v_add3_u32 v16, v82, v19, 1                                // 000000008D50: D1FF0010 02062752
	v_cndmask_b32_e64 v4, v16, v18, s[46:47]                   // 000000008D58: D1000004 00BA2510
	v_cmp_u_f32_e64 s[46:47], v83, v83                         // 000000008D60: D048002E 0002A753
	v_add3_u32 v16, v83, v19, 1                                // 000000008D68: D1FF0010 02062753
	v_cndmask_b32_e64 v5, v16, v18, s[46:47]                   // 000000008D70: D1000005 00BA2510
	v_perm_b32 v75, v5, v4, s52                                // 000000008D78: D1ED004B 00D20905
	v_cmp_u_f32_e64 s[46:47], v84, v84                         // 000000008D80: D048002E 0002A954
	v_add3_u32 v16, v84, v19, 1                                // 000000008D88: D1FF0010 02062754
	v_cndmask_b32_e64 v4, v16, v18, s[46:47]                   // 000000008D90: D1000004 00BA2510
	v_cmp_u_f32_e64 s[46:47], v85, v85                         // 000000008D98: D048002E 0002AB55
	v_add3_u32 v16, v85, v19, 1                                // 000000008DA0: D1FF0010 02062755
	v_cndmask_b32_e64 v5, v16, v18, s[46:47]                   // 000000008DA8: D1000005 00BA2510
	v_perm_b32 v76, v5, v4, s52                                // 000000008DB0: D1ED004C 00D20905
	v_cmp_u_f32_e64 s[46:47], v86, v86                         // 000000008DB8: D048002E 0002AD56
	v_add3_u32 v16, v86, v19, 1                                // 000000008DC0: D1FF0010 02062756
	v_cndmask_b32_e64 v4, v16, v18, s[46:47]                   // 000000008DC8: D1000004 00BA2510
	v_cmp_u_f32_e64 s[46:47], v87, v87                         // 000000008DD0: D048002E 0002AF57
	v_add3_u32 v16, v87, v19, 1                                // 000000008DD8: D1FF0010 02062757
	v_cndmask_b32_e64 v5, v16, v18, s[46:47]                   // 000000008DE0: D1000005 00BA2510
	v_perm_b32 v77, v5, v4, s52                                // 000000008DE8: D1ED004D 00D20905
	v_cmp_u_f32_e64 s[46:47], v88, v88                         // 000000008DF0: D048002E 0002B158
	v_add3_u32 v16, v88, v19, 1                                // 000000008DF8: D1FF0010 02062758
	v_cndmask_b32_e64 v4, v16, v18, s[46:47]                   // 000000008E00: D1000004 00BA2510
	v_cmp_u_f32_e64 s[46:47], v89, v89                         // 000000008E08: D048002E 0002B359
	v_add3_u32 v16, v89, v19, 1                                // 000000008E10: D1FF0010 02062759
	v_cndmask_b32_e64 v5, v16, v18, s[46:47]                   // 000000008E18: D1000005 00BA2510
	v_perm_b32 v78, v5, v4, s52                                // 000000008E20: D1ED004E 00D20905
	v_cmp_u_f32_e64 s[46:47], v90, v90                         // 000000008E28: D048002E 0002B55A
	v_add3_u32 v16, v90, v19, 1                                // 000000008E30: D1FF0010 0206275A
	v_cndmask_b32_e64 v4, v16, v18, s[46:47]                   // 000000008E38: D1000004 00BA2510
	v_cmp_u_f32_e64 s[46:47], v91, v91                         // 000000008E40: D048002E 0002B75B
	v_add3_u32 v16, v91, v19, 1                                // 000000008E48: D1FF0010 0206275B
	v_cndmask_b32_e64 v5, v16, v18, s[46:47]                   // 000000008E50: D1000005 00BA2510
	v_perm_b32 v79, v5, v4, s52                                // 000000008E58: D1ED004F 00D20905
	ds_write_b64 v20, v[68:69]                                 // 000000008E60: D89A0000 00004414
	ds_write_b64 v20, v[70:71] offset:2176                     // 000000008E68: D89A0880 00004614
	ds_write_b64 v20, v[72:73] offset:4352                     // 000000008E70: D89A1100 00004814
	ds_write_b64 v20, v[74:75] offset:6528                     // 000000008E78: D89A1980 00004A14
	ds_write_b64 v20, v[76:77] offset:8704                     // 000000008E80: D89A2200 00004C14
	ds_write_b64 v20, v[78:79] offset:10880                    // 000000008E88: D89A2A80 00004E14
	v_lshrrev_b32_e32 v4, 5, v0                                // 000000008E90: 20080085
	v_xor_b32_e32 v5, 1, v4                                    // 000000008E94: 2A0A0881
	s_mul_i32 s60, s65, 2                                      // 000000008E98: 923C8241
	s_cmp_eq_u32 s88, 0                                        // 000000008E9C: BF068058
	s_cselect_b32 s61, 1, 4                                    // 000000008EA0: 853D8481
	s_mul_i32 s60, s61, s60                                    // 000000008EA4: 923C3C3D
	v_readlane_b32 s82, v3, 0                                  // 000000008EA8: D2890052 00010103
	s_lshr_b32 s61, s82, 24                                    // 000000008EB0: 8F3D9852
	s_and_b32 s82, s82, 0xffffff                               // 000000008EB4: 8652FF52 00FFFFFF
	s_mul_i32 s82, s82, s71                                    // 000000008EBC: 92524752
	s_mul_i32 s61, s60, s61                                    // 000000008EC0: 923D3D3C
	s_add_u32 s82, s82, s61                                    // 000000008EC4: 80523D52
	v_mul_lo_u32 v6, v5, s82                                   // 000000008EC8: D2850006 0000A505
	v_readlane_b32 s82, v3, 1                                  // 000000008ED0: D2890052 00010303
	s_lshr_b32 s61, s82, 24                                    // 000000008ED8: 8F3D9852
	s_and_b32 s82, s82, 0xffffff                               // 000000008EDC: 8652FF52 00FFFFFF
	s_mul_i32 s82, s82, s71                                    // 000000008EE4: 92524752
	s_mul_i32 s61, s60, s61                                    // 000000008EE8: 923D3D3C
	s_add_u32 s82, s82, s61                                    // 000000008EEC: 80523D52
	v_mul_lo_u32 v7, v4, s82                                   // 000000008EF0: D2850007 0000A504
	v_add_u32_e32 v54, v6, v7                                  // 000000008EF8: 686C0F06
	v_readlane_b32 s82, v3, 2                                  // 000000008EFC: D2890052 00010503
	s_lshr_b32 s61, s82, 24                                    // 000000008F04: 8F3D9852
	s_and_b32 s82, s82, 0xffffff                               // 000000008F08: 8652FF52 00FFFFFF
	s_mul_i32 s82, s82, s71                                    // 000000008F10: 92524752
	s_mul_i32 s61, s60, s61                                    // 000000008F14: 923D3D3C
	s_add_u32 s82, s82, s61                                    // 000000008F18: 80523D52
	v_mul_lo_u32 v6, v5, s82                                   // 000000008F1C: D2850006 0000A505
	v_readlane_b32 s82, v3, 3                                  // 000000008F24: D2890052 00010703
	s_lshr_b32 s61, s82, 24                                    // 000000008F2C: 8F3D9852
	s_and_b32 s82, s82, 0xffffff                               // 000000008F30: 8652FF52 00FFFFFF
	s_mul_i32 s82, s82, s71                                    // 000000008F38: 92524752
	s_mul_i32 s61, s60, s61                                    // 000000008F3C: 923D3D3C
	s_add_u32 s82, s82, s61                                    // 000000008F40: 80523D52
	v_mul_lo_u32 v7, v4, s82                                   // 000000008F44: D2850007 0000A504
	v_add_u32_e32 v55, v6, v7                                  // 000000008F4C: 686E0F06
	v_readlane_b32 s82, v3, 4                                  // 000000008F50: D2890052 00010903
	s_lshr_b32 s61, s82, 24                                    // 000000008F58: 8F3D9852
	s_and_b32 s82, s82, 0xffffff                               // 000000008F5C: 8652FF52 00FFFFFF
	s_mul_i32 s82, s82, s71                                    // 000000008F64: 92524752
	s_mul_i32 s61, s60, s61                                    // 000000008F68: 923D3D3C
	s_add_u32 s82, s82, s61                                    // 000000008F6C: 80523D52
	v_mul_lo_u32 v6, v5, s82                                   // 000000008F70: D2850006 0000A505
	v_readlane_b32 s82, v3, 5                                  // 000000008F78: D2890052 00010B03
	s_lshr_b32 s61, s82, 24                                    // 000000008F80: 8F3D9852
	s_and_b32 s82, s82, 0xffffff                               // 000000008F84: 8652FF52 00FFFFFF
	s_mul_i32 s82, s82, s71                                    // 000000008F8C: 92524752
	s_mul_i32 s61, s60, s61                                    // 000000008F90: 923D3D3C
	s_add_u32 s82, s82, s61                                    // 000000008F94: 80523D52
	v_mul_lo_u32 v7, v4, s82                                   // 000000008F98: D2850007 0000A504
	v_add_u32_e32 v56, v6, v7                                  // 000000008FA0: 68700F06
	v_readlane_b32 s82, v3, 6                                  // 000000008FA4: D2890052 00010D03
	s_lshr_b32 s61, s82, 24                                    // 000000008FAC: 8F3D9852
	s_and_b32 s82, s82, 0xffffff                               // 000000008FB0: 8652FF52 00FFFFFF
	s_mul_i32 s82, s82, s71                                    // 000000008FB8: 92524752
	s_mul_i32 s61, s60, s61                                    // 000000008FBC: 923D3D3C
	s_add_u32 s82, s82, s61                                    // 000000008FC0: 80523D52
	v_mul_lo_u32 v6, v5, s82                                   // 000000008FC4: D2850006 0000A505
	v_readlane_b32 s82, v3, 7                                  // 000000008FCC: D2890052 00010F03
	s_lshr_b32 s61, s82, 24                                    // 000000008FD4: 8F3D9852
	s_and_b32 s82, s82, 0xffffff                               // 000000008FD8: 8652FF52 00FFFFFF
	s_mul_i32 s82, s82, s71                                    // 000000008FE0: 92524752
	s_mul_i32 s61, s60, s61                                    // 000000008FE4: 923D3D3C
	s_add_u32 s82, s82, s61                                    // 000000008FE8: 80523D52
	v_mul_lo_u32 v7, v4, s82                                   // 000000008FEC: D2850007 0000A504
	v_add_u32_e32 v57, v6, v7                                  // 000000008FF4: 68720F06
	v_readlane_b32 s82, v3, 8                                  // 000000008FF8: D2890052 00011103
	s_lshr_b32 s61, s82, 24                                    // 000000009000: 8F3D9852
	s_and_b32 s82, s82, 0xffffff                               // 000000009004: 8652FF52 00FFFFFF
	s_mul_i32 s82, s82, s71                                    // 00000000900C: 92524752
	s_mul_i32 s61, s60, s61                                    // 000000009010: 923D3D3C
	s_add_u32 s82, s82, s61                                    // 000000009014: 80523D52
	v_mul_lo_u32 v6, v5, s82                                   // 000000009018: D2850006 0000A505
	v_readlane_b32 s82, v3, 9                                  // 000000009020: D2890052 00011303
	s_lshr_b32 s61, s82, 24                                    // 000000009028: 8F3D9852
	s_and_b32 s82, s82, 0xffffff                               // 00000000902C: 8652FF52 00FFFFFF
	s_mul_i32 s82, s82, s71                                    // 000000009034: 92524752
	s_mul_i32 s61, s60, s61                                    // 000000009038: 923D3D3C
	s_add_u32 s82, s82, s61                                    // 00000000903C: 80523D52
	v_mul_lo_u32 v7, v4, s82                                   // 000000009040: D2850007 0000A504
	v_add_u32_e32 v58, v6, v7                                  // 000000009048: 68740F06
	v_readlane_b32 s82, v3, 10                                 // 00000000904C: D2890052 00011503
	s_lshr_b32 s61, s82, 24                                    // 000000009054: 8F3D9852
	s_and_b32 s82, s82, 0xffffff                               // 000000009058: 8652FF52 00FFFFFF
	s_mul_i32 s82, s82, s71                                    // 000000009060: 92524752
	s_mul_i32 s61, s60, s61                                    // 000000009064: 923D3D3C
	s_add_u32 s82, s82, s61                                    // 000000009068: 80523D52
	v_mul_lo_u32 v6, v5, s82                                   // 00000000906C: D2850006 0000A505
	v_readlane_b32 s82, v3, 11                                 // 000000009074: D2890052 00011703
	s_lshr_b32 s61, s82, 24                                    // 00000000907C: 8F3D9852
	s_and_b32 s82, s82, 0xffffff                               // 000000009080: 8652FF52 00FFFFFF
	s_mul_i32 s82, s82, s71                                    // 000000009088: 92524752
	s_mul_i32 s61, s60, s61                                    // 00000000908C: 923D3D3C
	s_add_u32 s82, s82, s61                                    // 000000009090: 80523D52
	v_mul_lo_u32 v7, v4, s82                                   // 000000009094: D2850007 0000A504
	v_add_u32_e32 v59, v6, v7                                  // 00000000909C: 68760F06
	v_readlane_b32 s82, v3, 12                                 // 0000000090A0: D2890052 00011903
	s_lshr_b32 s61, s82, 24                                    // 0000000090A8: 8F3D9852
	s_and_b32 s82, s82, 0xffffff                               // 0000000090AC: 8652FF52 00FFFFFF
	s_mul_i32 s82, s82, s71                                    // 0000000090B4: 92524752
	s_mul_i32 s61, s60, s61                                    // 0000000090B8: 923D3D3C
	s_add_u32 s82, s82, s61                                    // 0000000090BC: 80523D52
	v_mul_lo_u32 v6, v5, s82                                   // 0000000090C0: D2850006 0000A505
	v_readlane_b32 s82, v3, 13                                 // 0000000090C8: D2890052 00011B03
	s_lshr_b32 s61, s82, 24                                    // 0000000090D0: 8F3D9852
	s_and_b32 s82, s82, 0xffffff                               // 0000000090D4: 8652FF52 00FFFFFF
	s_mul_i32 s82, s82, s71                                    // 0000000090DC: 92524752
	s_mul_i32 s61, s60, s61                                    // 0000000090E0: 923D3D3C
	s_add_u32 s82, s82, s61                                    // 0000000090E4: 80523D52
	v_mul_lo_u32 v7, v4, s82                                   // 0000000090E8: D2850007 0000A504
	v_add_u32_e32 v60, v6, v7                                  // 0000000090F0: 68780F06
	v_readlane_b32 s82, v3, 14                                 // 0000000090F4: D2890052 00011D03
	s_lshr_b32 s61, s82, 24                                    // 0000000090FC: 8F3D9852
	s_and_b32 s82, s82, 0xffffff                               // 000000009100: 8652FF52 00FFFFFF
	s_mul_i32 s82, s82, s71                                    // 000000009108: 92524752
	s_mul_i32 s61, s60, s61                                    // 00000000910C: 923D3D3C
	s_add_u32 s82, s82, s61                                    // 000000009110: 80523D52
	v_mul_lo_u32 v6, v5, s82                                   // 000000009114: D2850006 0000A505
	v_readlane_b32 s82, v3, 15                                 // 00000000911C: D2890052 00011F03
	s_lshr_b32 s61, s82, 24                                    // 000000009124: 8F3D9852
	s_and_b32 s82, s82, 0xffffff                               // 000000009128: 8652FF52 00FFFFFF
	s_mul_i32 s82, s82, s71                                    // 000000009130: 92524752
	s_mul_i32 s61, s60, s61                                    // 000000009134: 923D3D3C
	s_add_u32 s82, s82, s61                                    // 000000009138: 80523D52
	v_mul_lo_u32 v7, v4, s82                                   // 00000000913C: D2850007 0000A504
	v_add_u32_e32 v61, v6, v7                                  // 000000009144: 687A0F06
	v_readlane_b32 s82, v3, 16                                 // 000000009148: D2890052 00012103
	s_lshr_b32 s61, s82, 24                                    // 000000009150: 8F3D9852
	s_and_b32 s82, s82, 0xffffff                               // 000000009154: 8652FF52 00FFFFFF
	s_mul_i32 s82, s82, s71                                    // 00000000915C: 92524752
	s_mul_i32 s61, s60, s61                                    // 000000009160: 923D3D3C
	s_add_u32 s82, s82, s61                                    // 000000009164: 80523D52
	v_mul_lo_u32 v6, v5, s82                                   // 000000009168: D2850006 0000A505
	v_readlane_b32 s82, v3, 17                                 // 000000009170: D2890052 00012303
	s_lshr_b32 s61, s82, 24                                    // 000000009178: 8F3D9852
	s_and_b32 s82, s82, 0xffffff                               // 00000000917C: 8652FF52 00FFFFFF
	s_mul_i32 s82, s82, s71                                    // 000000009184: 92524752
	s_mul_i32 s61, s60, s61                                    // 000000009188: 923D3D3C
	s_add_u32 s82, s82, s61                                    // 00000000918C: 80523D52
	v_mul_lo_u32 v7, v4, s82                                   // 000000009190: D2850007 0000A504
	v_add_u32_e32 v62, v6, v7                                  // 000000009198: 687C0F06
	v_readlane_b32 s82, v3, 18                                 // 00000000919C: D2890052 00012503
	s_lshr_b32 s61, s82, 24                                    // 0000000091A4: 8F3D9852
	s_and_b32 s82, s82, 0xffffff                               // 0000000091A8: 8652FF52 00FFFFFF
	s_mul_i32 s82, s82, s71                                    // 0000000091B0: 92524752
	s_mul_i32 s61, s60, s61                                    // 0000000091B4: 923D3D3C
	s_add_u32 s82, s82, s61                                    // 0000000091B8: 80523D52
	v_mul_lo_u32 v6, v5, s82                                   // 0000000091BC: D2850006 0000A505
	v_readlane_b32 s82, v3, 19                                 // 0000000091C4: D2890052 00012703
	s_lshr_b32 s61, s82, 24                                    // 0000000091CC: 8F3D9852
	s_and_b32 s82, s82, 0xffffff                               // 0000000091D0: 8652FF52 00FFFFFF
	s_mul_i32 s82, s82, s71                                    // 0000000091D8: 92524752
	s_mul_i32 s61, s60, s61                                    // 0000000091DC: 923D3D3C
	s_add_u32 s82, s82, s61                                    // 0000000091E0: 80523D52
	v_mul_lo_u32 v7, v4, s82                                   // 0000000091E4: D2850007 0000A504
	v_add_u32_e32 v63, v6, v7                                  // 0000000091EC: 687E0F06
	v_readlane_b32 s82, v3, 20                                 // 0000000091F0: D2890052 00012903
	s_lshr_b32 s61, s82, 24                                    // 0000000091F8: 8F3D9852
	s_and_b32 s82, s82, 0xffffff                               // 0000000091FC: 8652FF52 00FFFFFF
	s_mul_i32 s82, s82, s71                                    // 000000009204: 92524752
	s_mul_i32 s61, s60, s61                                    // 000000009208: 923D3D3C
	s_add_u32 s82, s82, s61                                    // 00000000920C: 80523D52
	v_mul_lo_u32 v6, v5, s82                                   // 000000009210: D2850006 0000A505
	v_readlane_b32 s82, v3, 21                                 // 000000009218: D2890052 00012B03
	s_lshr_b32 s61, s82, 24                                    // 000000009220: 8F3D9852
	s_and_b32 s82, s82, 0xffffff                               // 000000009224: 8652FF52 00FFFFFF
	s_mul_i32 s82, s82, s71                                    // 00000000922C: 92524752
	s_mul_i32 s61, s60, s61                                    // 000000009230: 923D3D3C
	s_add_u32 s82, s82, s61                                    // 000000009234: 80523D52
	v_mul_lo_u32 v7, v4, s82                                   // 000000009238: D2850007 0000A504
	v_add_u32_e32 v64, v6, v7                                  // 000000009240: 68800F06
	v_readlane_b32 s82, v3, 22                                 // 000000009244: D2890052 00012D03
	s_lshr_b32 s61, s82, 24                                    // 00000000924C: 8F3D9852
	s_and_b32 s82, s82, 0xffffff                               // 000000009250: 8652FF52 00FFFFFF
	s_mul_i32 s82, s82, s71                                    // 000000009258: 92524752
	s_mul_i32 s61, s60, s61                                    // 00000000925C: 923D3D3C
	s_add_u32 s82, s82, s61                                    // 000000009260: 80523D52
	v_mul_lo_u32 v6, v5, s82                                   // 000000009264: D2850006 0000A505
	v_readlane_b32 s82, v3, 23                                 // 00000000926C: D2890052 00012F03
	s_lshr_b32 s61, s82, 24                                    // 000000009274: 8F3D9852
	s_and_b32 s82, s82, 0xffffff                               // 000000009278: 8652FF52 00FFFFFF
	s_mul_i32 s82, s82, s71                                    // 000000009280: 92524752
	s_mul_i32 s61, s60, s61                                    // 000000009284: 923D3D3C
	s_add_u32 s82, s82, s61                                    // 000000009288: 80523D52
	v_mul_lo_u32 v7, v4, s82                                   // 00000000928C: D2850007 0000A504
	v_add_u32_e32 v65, v6, v7                                  // 000000009294: 68820F06
	v_and_b32_e32 v4, 31, v0                                   // 000000009298: 2608009F
	v_lshrrev_b32_e32 v4, 1, v4                                // 00000000929C: 20080881
	s_cmp_eq_u32 s88, 0                                        // 0000000092A0: BF068058
	s_cselect_b32 s61, 2, 4                                    // 0000000092A4: 853D8482
	v_mul_lo_u32 v4, v4, s61                                   // 0000000092A8: D2850004 00007B04
	v_and_b32_e64 v5, v0, 1                                    // 0000000092B0: D1130005 00010300
	v_add_u32_e32 v4, v4, v5                                   // 0000000092B8: 68080B04
	v_lshlrev_b32_e32 v4, 2, v4                                // 0000000092BC: 24080882
	v_add_u32_e32 v54, v54, v4                                 // 0000000092C0: 686C0936
	v_add_u32_e32 v55, v55, v4                                 // 0000000092C4: 686E0937
	v_add_u32_e32 v56, v56, v4                                 // 0000000092C8: 68700938
	v_add_u32_e32 v57, v57, v4                                 // 0000000092CC: 68720939
	v_add_u32_e32 v58, v58, v4                                 // 0000000092D0: 6874093A
	v_add_u32_e32 v59, v59, v4                                 // 0000000092D4: 6876093B
	v_add_u32_e32 v60, v60, v4                                 // 0000000092D8: 6878093C
	v_add_u32_e32 v61, v61, v4                                 // 0000000092DC: 687A093D
	v_add_u32_e32 v62, v62, v4                                 // 0000000092E0: 687C093E
	v_add_u32_e32 v63, v63, v4                                 // 0000000092E4: 687E093F
	v_add_u32_e32 v64, v64, v4                                 // 0000000092E8: 68800940
	v_add_u32_e32 v65, v65, v4                                 // 0000000092EC: 68820941
	s_waitcnt lgkmcnt(0)                                       // 0000000092F0: BF8CC07F
	s_barrier                                                  // 0000000092F4: BF8A0000
	ds_read_b32 v68, v21                                       // 0000000092F8: D86C0000 44000015
	ds_read_b32 v69, v21 offset:64                             // 000000009300: D86C0040 45000015
	ds_read_b32 v70, v21 offset:2176                           // 000000009308: D86C0880 46000015
	ds_read_b32 v71, v21 offset:2240                           // 000000009310: D86C08C0 47000015
	ds_read_b32 v72, v21 offset:4352                           // 000000009318: D86C1100 48000015
	ds_read_b32 v73, v21 offset:4416                           // 000000009320: D86C1140 49000015
	ds_read_b32 v74, v21 offset:6528                           // 000000009328: D86C1980 4A000015
	ds_read_b32 v75, v21 offset:6592                           // 000000009330: D86C19C0 4B000015
	ds_read_b32 v76, v21 offset:8704                           // 000000009338: D86C2200 4C000015
	ds_read_b32 v77, v21 offset:8768                           // 000000009340: D86C2240 4D000015
	ds_read_b32 v78, v21 offset:10880                          // 000000009348: D86C2A80 4E000015
	ds_read_b32 v79, v21 offset:10944                          // 000000009350: D86C2AC0 4F000015
	s_waitcnt lgkmcnt(0)                                       // 000000009358: BF8CC07F
	s_mov_b32 s36, -1                                          // 00000000935C: BEA400C1
	s_mov_b32 s37, -1                                          // 000000009360: BEA500C1
	v_mov_b32_e32 v7, 0                                        // 000000009364: 7E0E0280
	s_or_b32 s9, s9, 0x40000                                   // 000000009368: 8709FF09 00040000
	s_mov_b64 exec, s[36:37]                                   // 000000009370: BEFE0124
	v_mov_b32_e32 v6, v54                                      // 000000009374: 7E0C0336
	s_mov_b64 s[60:61], 0                                      // 000000009378: BEBC0180
	v_readlane_b32 s82, v3, 0                                  // 00000000937C: D2890052 00010103
	s_and_b32 s82, s82, 0xffffff                               // 000000009384: 8652FF52 00FFFFFF
	s_cmp_lt_u32 s82, s66                                      // 00000000938C: BF0A4252
	s_cselect_b32 s20, s36, s60                                // 000000009390: 85143C24
	v_readlane_b32 s82, v3, 1                                  // 000000009394: D2890052 00010303
	s_and_b32 s82, s82, 0xffffff                               // 00000000939C: 8652FF52 00FFFFFF
	s_cmp_lt_u32 s82, s66                                      // 0000000093A4: BF0A4252
	s_cselect_b32 s21, s36, s60                                // 0000000093A8: 85153C24
	s_mov_b64 exec, s[20:21]                                   // 0000000093AC: BEFE0114
	buffer_store_dword v68, v6, s[8:11], 0 offen               // 0000000093B0: E0701000 80024406
	s_mov_b64 exec, s[36:37]                                   // 0000000093B8: BEFE0124
	v_mov_b32_e32 v6, v55                                      // 0000000093BC: 7E0C0337
	s_mov_b64 s[60:61], 0                                      // 0000000093C0: BEBC0180
	v_readlane_b32 s82, v3, 2                                  // 0000000093C4: D2890052 00010503
	s_and_b32 s82, s82, 0xffffff                               // 0000000093CC: 8652FF52 00FFFFFF
	s_cmp_lt_u32 s82, s66                                      // 0000000093D4: BF0A4252
	s_cselect_b32 s20, s36, s60                                // 0000000093D8: 85143C24
	v_readlane_b32 s82, v3, 3                                  // 0000000093DC: D2890052 00010703
	s_and_b32 s82, s82, 0xffffff                               // 0000000093E4: 8652FF52 00FFFFFF
	s_cmp_lt_u32 s82, s66                                      // 0000000093EC: BF0A4252
	s_cselect_b32 s21, s36, s60                                // 0000000093F0: 85153C24
	s_mov_b64 exec, s[20:21]                                   // 0000000093F4: BEFE0114
	buffer_store_dword v69, v6, s[8:11], 0 offen               // 0000000093F8: E0701000 80024506
	s_mov_b64 exec, s[36:37]                                   // 000000009400: BEFE0124
	v_mov_b32_e32 v6, v56                                      // 000000009404: 7E0C0338
	s_mov_b64 s[60:61], 0                                      // 000000009408: BEBC0180
	v_readlane_b32 s82, v3, 4                                  // 00000000940C: D2890052 00010903
	s_and_b32 s82, s82, 0xffffff                               // 000000009414: 8652FF52 00FFFFFF
	s_cmp_lt_u32 s82, s66                                      // 00000000941C: BF0A4252
	s_cselect_b32 s20, s36, s60                                // 000000009420: 85143C24
	v_readlane_b32 s82, v3, 5                                  // 000000009424: D2890052 00010B03
	s_and_b32 s82, s82, 0xffffff                               // 00000000942C: 8652FF52 00FFFFFF
	s_cmp_lt_u32 s82, s66                                      // 000000009434: BF0A4252
	s_cselect_b32 s21, s36, s60                                // 000000009438: 85153C24
	s_mov_b64 exec, s[20:21]                                   // 00000000943C: BEFE0114
	buffer_store_dword v70, v6, s[8:11], 0 offen               // 000000009440: E0701000 80024606
	s_mov_b64 exec, s[36:37]                                   // 000000009448: BEFE0124
	v_mov_b32_e32 v6, v57                                      // 00000000944C: 7E0C0339
	s_mov_b64 s[60:61], 0                                      // 000000009450: BEBC0180
	v_readlane_b32 s82, v3, 6                                  // 000000009454: D2890052 00010D03
	s_and_b32 s82, s82, 0xffffff                               // 00000000945C: 8652FF52 00FFFFFF
	s_cmp_lt_u32 s82, s66                                      // 000000009464: BF0A4252
	s_cselect_b32 s20, s36, s60                                // 000000009468: 85143C24
	v_readlane_b32 s82, v3, 7                                  // 00000000946C: D2890052 00010F03
	s_and_b32 s82, s82, 0xffffff                               // 000000009474: 8652FF52 00FFFFFF
	s_cmp_lt_u32 s82, s66                                      // 00000000947C: BF0A4252
	s_cselect_b32 s21, s36, s60                                // 000000009480: 85153C24
	s_mov_b64 exec, s[20:21]                                   // 000000009484: BEFE0114
	buffer_store_dword v71, v6, s[8:11], 0 offen               // 000000009488: E0701000 80024706
	s_mov_b64 exec, s[36:37]                                   // 000000009490: BEFE0124
	v_mov_b32_e32 v6, v58                                      // 000000009494: 7E0C033A
	s_mov_b64 s[60:61], 0                                      // 000000009498: BEBC0180
	v_readlane_b32 s82, v3, 8                                  // 00000000949C: D2890052 00011103
	s_and_b32 s82, s82, 0xffffff                               // 0000000094A4: 8652FF52 00FFFFFF
	s_cmp_lt_u32 s82, s66                                      // 0000000094AC: BF0A4252
	s_cselect_b32 s20, s36, s60                                // 0000000094B0: 85143C24
	v_readlane_b32 s82, v3, 9                                  // 0000000094B4: D2890052 00011303
	s_and_b32 s82, s82, 0xffffff                               // 0000000094BC: 8652FF52 00FFFFFF
	s_cmp_lt_u32 s82, s66                                      // 0000000094C4: BF0A4252
	s_cselect_b32 s21, s36, s60                                // 0000000094C8: 85153C24
	s_mov_b64 exec, s[20:21]                                   // 0000000094CC: BEFE0114
	buffer_store_dword v72, v6, s[8:11], 0 offen               // 0000000094D0: E0701000 80024806
	s_mov_b64 exec, s[36:37]                                   // 0000000094D8: BEFE0124
	v_mov_b32_e32 v6, v59                                      // 0000000094DC: 7E0C033B
	s_mov_b64 s[60:61], 0                                      // 0000000094E0: BEBC0180
	v_readlane_b32 s82, v3, 10                                 // 0000000094E4: D2890052 00011503
	s_and_b32 s82, s82, 0xffffff                               // 0000000094EC: 8652FF52 00FFFFFF
	s_cmp_lt_u32 s82, s66                                      // 0000000094F4: BF0A4252
	s_cselect_b32 s20, s36, s60                                // 0000000094F8: 85143C24
	v_readlane_b32 s82, v3, 11                                 // 0000000094FC: D2890052 00011703
	s_and_b32 s82, s82, 0xffffff                               // 000000009504: 8652FF52 00FFFFFF
	s_cmp_lt_u32 s82, s66                                      // 00000000950C: BF0A4252
	s_cselect_b32 s21, s36, s60                                // 000000009510: 85153C24
	s_mov_b64 exec, s[20:21]                                   // 000000009514: BEFE0114
	buffer_store_dword v73, v6, s[8:11], 0 offen               // 000000009518: E0701000 80024906
	s_mov_b64 exec, s[36:37]                                   // 000000009520: BEFE0124
	v_mov_b32_e32 v6, v60                                      // 000000009524: 7E0C033C
	s_mov_b64 s[60:61], 0                                      // 000000009528: BEBC0180
	v_readlane_b32 s82, v3, 12                                 // 00000000952C: D2890052 00011903
	s_and_b32 s82, s82, 0xffffff                               // 000000009534: 8652FF52 00FFFFFF
	s_cmp_lt_u32 s82, s66                                      // 00000000953C: BF0A4252
	s_cselect_b32 s20, s36, s60                                // 000000009540: 85143C24
	v_readlane_b32 s82, v3, 13                                 // 000000009544: D2890052 00011B03
	s_and_b32 s82, s82, 0xffffff                               // 00000000954C: 8652FF52 00FFFFFF
	s_cmp_lt_u32 s82, s66                                      // 000000009554: BF0A4252
	s_cselect_b32 s21, s36, s60                                // 000000009558: 85153C24
	s_mov_b64 exec, s[20:21]                                   // 00000000955C: BEFE0114
	buffer_store_dword v74, v6, s[8:11], 0 offen               // 000000009560: E0701000 80024A06
	s_mov_b64 exec, s[36:37]                                   // 000000009568: BEFE0124
	v_mov_b32_e32 v6, v61                                      // 00000000956C: 7E0C033D
	s_mov_b64 s[60:61], 0                                      // 000000009570: BEBC0180
	v_readlane_b32 s82, v3, 14                                 // 000000009574: D2890052 00011D03
	s_and_b32 s82, s82, 0xffffff                               // 00000000957C: 8652FF52 00FFFFFF
	s_cmp_lt_u32 s82, s66                                      // 000000009584: BF0A4252
	s_cselect_b32 s20, s36, s60                                // 000000009588: 85143C24
	v_readlane_b32 s82, v3, 15                                 // 00000000958C: D2890052 00011F03
	s_and_b32 s82, s82, 0xffffff                               // 000000009594: 8652FF52 00FFFFFF
	s_cmp_lt_u32 s82, s66                                      // 00000000959C: BF0A4252
	s_cselect_b32 s21, s36, s60                                // 0000000095A0: 85153C24
	s_mov_b64 exec, s[20:21]                                   // 0000000095A4: BEFE0114
	buffer_store_dword v75, v6, s[8:11], 0 offen               // 0000000095A8: E0701000 80024B06
	s_mov_b64 exec, s[36:37]                                   // 0000000095B0: BEFE0124
	v_mov_b32_e32 v6, v62                                      // 0000000095B4: 7E0C033E
	s_mov_b64 s[60:61], 0                                      // 0000000095B8: BEBC0180
	v_readlane_b32 s82, v3, 16                                 // 0000000095BC: D2890052 00012103
	s_and_b32 s82, s82, 0xffffff                               // 0000000095C4: 8652FF52 00FFFFFF
	s_cmp_lt_u32 s82, s66                                      // 0000000095CC: BF0A4252
	s_cselect_b32 s20, s36, s60                                // 0000000095D0: 85143C24
	v_readlane_b32 s82, v3, 17                                 // 0000000095D4: D2890052 00012303
	s_and_b32 s82, s82, 0xffffff                               // 0000000095DC: 8652FF52 00FFFFFF
	s_cmp_lt_u32 s82, s66                                      // 0000000095E4: BF0A4252
	s_cselect_b32 s21, s36, s60                                // 0000000095E8: 85153C24
	s_mov_b64 exec, s[20:21]                                   // 0000000095EC: BEFE0114
	buffer_store_dword v76, v6, s[8:11], 0 offen               // 0000000095F0: E0701000 80024C06
	s_mov_b64 exec, s[36:37]                                   // 0000000095F8: BEFE0124
	v_mov_b32_e32 v6, v63                                      // 0000000095FC: 7E0C033F
	s_mov_b64 s[60:61], 0                                      // 000000009600: BEBC0180
	v_readlane_b32 s82, v3, 18                                 // 000000009604: D2890052 00012503
	s_and_b32 s82, s82, 0xffffff                               // 00000000960C: 8652FF52 00FFFFFF
	s_cmp_lt_u32 s82, s66                                      // 000000009614: BF0A4252
	s_cselect_b32 s20, s36, s60                                // 000000009618: 85143C24
	v_readlane_b32 s82, v3, 19                                 // 00000000961C: D2890052 00012703
	s_and_b32 s82, s82, 0xffffff                               // 000000009624: 8652FF52 00FFFFFF
	s_cmp_lt_u32 s82, s66                                      // 00000000962C: BF0A4252
	s_cselect_b32 s21, s36, s60                                // 000000009630: 85153C24
	s_mov_b64 exec, s[20:21]                                   // 000000009634: BEFE0114
	buffer_store_dword v77, v6, s[8:11], 0 offen               // 000000009638: E0701000 80024D06
	s_mov_b64 exec, s[36:37]                                   // 000000009640: BEFE0124
	v_mov_b32_e32 v6, v64                                      // 000000009644: 7E0C0340
	s_mov_b64 s[60:61], 0                                      // 000000009648: BEBC0180
	v_readlane_b32 s82, v3, 20                                 // 00000000964C: D2890052 00012903
	s_and_b32 s82, s82, 0xffffff                               // 000000009654: 8652FF52 00FFFFFF
	s_cmp_lt_u32 s82, s66                                      // 00000000965C: BF0A4252
	s_cselect_b32 s20, s36, s60                                // 000000009660: 85143C24
	v_readlane_b32 s82, v3, 21                                 // 000000009664: D2890052 00012B03
	s_and_b32 s82, s82, 0xffffff                               // 00000000966C: 8652FF52 00FFFFFF
	s_cmp_lt_u32 s82, s66                                      // 000000009674: BF0A4252
	s_cselect_b32 s21, s36, s60                                // 000000009678: 85153C24
	s_mov_b64 exec, s[20:21]                                   // 00000000967C: BEFE0114
	buffer_store_dword v78, v6, s[8:11], 0 offen               // 000000009680: E0701000 80024E06
	s_mov_b64 exec, s[36:37]                                   // 000000009688: BEFE0124
	v_mov_b32_e32 v6, v65                                      // 00000000968C: 7E0C0341
	s_mov_b64 s[60:61], 0                                      // 000000009690: BEBC0180
	v_readlane_b32 s82, v3, 22                                 // 000000009694: D2890052 00012D03
	s_and_b32 s82, s82, 0xffffff                               // 00000000969C: 8652FF52 00FFFFFF
	s_cmp_lt_u32 s82, s66                                      // 0000000096A4: BF0A4252
	s_cselect_b32 s20, s36, s60                                // 0000000096A8: 85143C24
	v_readlane_b32 s82, v3, 23                                 // 0000000096AC: D2890052 00012F03
	s_and_b32 s82, s82, 0xffffff                               // 0000000096B4: 8652FF52 00FFFFFF
	s_cmp_lt_u32 s82, s66                                      // 0000000096BC: BF0A4252
	s_cselect_b32 s21, s36, s60                                // 0000000096C0: 85153C24
	s_mov_b64 exec, s[20:21]                                   // 0000000096C4: BEFE0114
	buffer_store_dword v79, v6, s[8:11], 0 offen               // 0000000096C8: E0701000 80024F06
	s_mov_b64 exec, s[36:37]                                   // 0000000096D0: BEFE0124
	s_branch label_209B                                        // 0000000096D4: BF820522

00000000000096d8 <label_1B79>:
	ds_write_b64 v20, v[68:69]                                 // 0000000096D8: D89A0000 00004414
	ds_write_b64 v20, v[72:73] offset:2176                     // 0000000096E0: D89A0880 00004814
	ds_write_b64 v20, v[76:77] offset:4352                     // 0000000096E8: D89A1100 00004C14
	ds_write_b64 v20, v[80:81] offset:6528                     // 0000000096F0: D89A1980 00005014
	ds_write_b64 v20, v[84:85] offset:8704                     // 0000000096F8: D89A2200 00005414
	ds_write_b64 v20, v[88:89] offset:10880                    // 000000009700: D89A2A80 00005814
	v_lshrrev_b32_e32 v4, 5, v0                                // 000000009708: 20080085
	v_xor_b32_e32 v5, 1, v4                                    // 00000000970C: 2A0A0881
	s_mul_i32 s60, s65, 2                                      // 000000009710: 923C8241
	s_cmp_eq_u32 s88, 0                                        // 000000009714: BF068058
	s_cselect_b32 s61, 1, 4                                    // 000000009718: 853D8481
	s_mul_i32 s60, s61, s60                                    // 00000000971C: 923C3C3D
	v_readlane_b32 s82, v3, 0                                  // 000000009720: D2890052 00010103
	s_lshr_b32 s61, s82, 24                                    // 000000009728: 8F3D9852
	s_and_b32 s82, s82, 0xffffff                               // 00000000972C: 8652FF52 00FFFFFF
	s_mul_i32 s82, s82, s71                                    // 000000009734: 92524752
	s_mul_i32 s61, s60, s61                                    // 000000009738: 923D3D3C
	s_add_u32 s82, s82, s61                                    // 00000000973C: 80523D52
	v_mul_lo_u32 v6, v5, s82                                   // 000000009740: D2850006 0000A505
	v_readlane_b32 s82, v3, 1                                  // 000000009748: D2890052 00010303
	s_lshr_b32 s61, s82, 24                                    // 000000009750: 8F3D9852
	s_and_b32 s82, s82, 0xffffff                               // 000000009754: 8652FF52 00FFFFFF
	s_mul_i32 s82, s82, s71                                    // 00000000975C: 92524752
	s_mul_i32 s61, s60, s61                                    // 000000009760: 923D3D3C
	s_add_u32 s82, s82, s61                                    // 000000009764: 80523D52
	v_mul_lo_u32 v7, v4, s82                                   // 000000009768: D2850007 0000A504
	v_add_u32_e32 v54, v6, v7                                  // 000000009770: 686C0F06
	v_readlane_b32 s82, v3, 2                                  // 000000009774: D2890052 00010503
	s_lshr_b32 s61, s82, 24                                    // 00000000977C: 8F3D9852
	s_and_b32 s82, s82, 0xffffff                               // 000000009780: 8652FF52 00FFFFFF
	s_mul_i32 s82, s82, s71                                    // 000000009788: 92524752
	s_mul_i32 s61, s60, s61                                    // 00000000978C: 923D3D3C
	s_add_u32 s82, s82, s61                                    // 000000009790: 80523D52
	v_mul_lo_u32 v6, v5, s82                                   // 000000009794: D2850006 0000A505
	v_readlane_b32 s82, v3, 3                                  // 00000000979C: D2890052 00010703
	s_lshr_b32 s61, s82, 24                                    // 0000000097A4: 8F3D9852
	s_and_b32 s82, s82, 0xffffff                               // 0000000097A8: 8652FF52 00FFFFFF
	s_mul_i32 s82, s82, s71                                    // 0000000097B0: 92524752
	s_mul_i32 s61, s60, s61                                    // 0000000097B4: 923D3D3C
	s_add_u32 s82, s82, s61                                    // 0000000097B8: 80523D52
	v_mul_lo_u32 v7, v4, s82                                   // 0000000097BC: D2850007 0000A504
	v_add_u32_e32 v55, v6, v7                                  // 0000000097C4: 686E0F06
	v_readlane_b32 s82, v3, 4                                  // 0000000097C8: D2890052 00010903
	s_lshr_b32 s61, s82, 24                                    // 0000000097D0: 8F3D9852
	s_and_b32 s82, s82, 0xffffff                               // 0000000097D4: 8652FF52 00FFFFFF
	s_mul_i32 s82, s82, s71                                    // 0000000097DC: 92524752
	s_mul_i32 s61, s60, s61                                    // 0000000097E0: 923D3D3C
	s_add_u32 s82, s82, s61                                    // 0000000097E4: 80523D52
	v_mul_lo_u32 v6, v5, s82                                   // 0000000097E8: D2850006 0000A505
	v_readlane_b32 s82, v3, 5                                  // 0000000097F0: D2890052 00010B03
	s_lshr_b32 s61, s82, 24                                    // 0000000097F8: 8F3D9852
	s_and_b32 s82, s82, 0xffffff                               // 0000000097FC: 8652FF52 00FFFFFF
	s_mul_i32 s82, s82, s71                                    // 000000009804: 92524752
	s_mul_i32 s61, s60, s61                                    // 000000009808: 923D3D3C
	s_add_u32 s82, s82, s61                                    // 00000000980C: 80523D52
	v_mul_lo_u32 v7, v4, s82                                   // 000000009810: D2850007 0000A504
	v_add_u32_e32 v56, v6, v7                                  // 000000009818: 68700F06
	v_readlane_b32 s82, v3, 6                                  // 00000000981C: D2890052 00010D03
	s_lshr_b32 s61, s82, 24                                    // 000000009824: 8F3D9852
	s_and_b32 s82, s82, 0xffffff                               // 000000009828: 8652FF52 00FFFFFF
	s_mul_i32 s82, s82, s71                                    // 000000009830: 92524752
	s_mul_i32 s61, s60, s61                                    // 000000009834: 923D3D3C
	s_add_u32 s82, s82, s61                                    // 000000009838: 80523D52
	v_mul_lo_u32 v6, v5, s82                                   // 00000000983C: D2850006 0000A505
	v_readlane_b32 s82, v3, 7                                  // 000000009844: D2890052 00010F03
	s_lshr_b32 s61, s82, 24                                    // 00000000984C: 8F3D9852
	s_and_b32 s82, s82, 0xffffff                               // 000000009850: 8652FF52 00FFFFFF
	s_mul_i32 s82, s82, s71                                    // 000000009858: 92524752
	s_mul_i32 s61, s60, s61                                    // 00000000985C: 923D3D3C
	s_add_u32 s82, s82, s61                                    // 000000009860: 80523D52
	v_mul_lo_u32 v7, v4, s82                                   // 000000009864: D2850007 0000A504
	v_add_u32_e32 v57, v6, v7                                  // 00000000986C: 68720F06
	v_readlane_b32 s82, v3, 8                                  // 000000009870: D2890052 00011103
	s_lshr_b32 s61, s82, 24                                    // 000000009878: 8F3D9852
	s_and_b32 s82, s82, 0xffffff                               // 00000000987C: 8652FF52 00FFFFFF
	s_mul_i32 s82, s82, s71                                    // 000000009884: 92524752
	s_mul_i32 s61, s60, s61                                    // 000000009888: 923D3D3C
	s_add_u32 s82, s82, s61                                    // 00000000988C: 80523D52
	v_mul_lo_u32 v6, v5, s82                                   // 000000009890: D2850006 0000A505
	v_readlane_b32 s82, v3, 9                                  // 000000009898: D2890052 00011303
	s_lshr_b32 s61, s82, 24                                    // 0000000098A0: 8F3D9852
	s_and_b32 s82, s82, 0xffffff                               // 0000000098A4: 8652FF52 00FFFFFF
	s_mul_i32 s82, s82, s71                                    // 0000000098AC: 92524752
	s_mul_i32 s61, s60, s61                                    // 0000000098B0: 923D3D3C
	s_add_u32 s82, s82, s61                                    // 0000000098B4: 80523D52
	v_mul_lo_u32 v7, v4, s82                                   // 0000000098B8: D2850007 0000A504
	v_add_u32_e32 v58, v6, v7                                  // 0000000098C0: 68740F06
	v_readlane_b32 s82, v3, 10                                 // 0000000098C4: D2890052 00011503
	s_lshr_b32 s61, s82, 24                                    // 0000000098CC: 8F3D9852
	s_and_b32 s82, s82, 0xffffff                               // 0000000098D0: 8652FF52 00FFFFFF
	s_mul_i32 s82, s82, s71                                    // 0000000098D8: 92524752
	s_mul_i32 s61, s60, s61                                    // 0000000098DC: 923D3D3C
	s_add_u32 s82, s82, s61                                    // 0000000098E0: 80523D52
	v_mul_lo_u32 v6, v5, s82                                   // 0000000098E4: D2850006 0000A505
	v_readlane_b32 s82, v3, 11                                 // 0000000098EC: D2890052 00011703
	s_lshr_b32 s61, s82, 24                                    // 0000000098F4: 8F3D9852
	s_and_b32 s82, s82, 0xffffff                               // 0000000098F8: 8652FF52 00FFFFFF
	s_mul_i32 s82, s82, s71                                    // 000000009900: 92524752
	s_mul_i32 s61, s60, s61                                    // 000000009904: 923D3D3C
	s_add_u32 s82, s82, s61                                    // 000000009908: 80523D52
	v_mul_lo_u32 v7, v4, s82                                   // 00000000990C: D2850007 0000A504
	v_add_u32_e32 v59, v6, v7                                  // 000000009914: 68760F06
	v_readlane_b32 s82, v3, 12                                 // 000000009918: D2890052 00011903
	s_lshr_b32 s61, s82, 24                                    // 000000009920: 8F3D9852
	s_and_b32 s82, s82, 0xffffff                               // 000000009924: 8652FF52 00FFFFFF
	s_mul_i32 s82, s82, s71                                    // 00000000992C: 92524752
	s_mul_i32 s61, s60, s61                                    // 000000009930: 923D3D3C
	s_add_u32 s82, s82, s61                                    // 000000009934: 80523D52
	v_mul_lo_u32 v6, v5, s82                                   // 000000009938: D2850006 0000A505
	v_readlane_b32 s82, v3, 13                                 // 000000009940: D2890052 00011B03
	s_lshr_b32 s61, s82, 24                                    // 000000009948: 8F3D9852
	s_and_b32 s82, s82, 0xffffff                               // 00000000994C: 8652FF52 00FFFFFF
	s_mul_i32 s82, s82, s71                                    // 000000009954: 92524752
	s_mul_i32 s61, s60, s61                                    // 000000009958: 923D3D3C
	s_add_u32 s82, s82, s61                                    // 00000000995C: 80523D52
	v_mul_lo_u32 v7, v4, s82                                   // 000000009960: D2850007 0000A504
	v_add_u32_e32 v60, v6, v7                                  // 000000009968: 68780F06
	v_readlane_b32 s82, v3, 14                                 // 00000000996C: D2890052 00011D03
	s_lshr_b32 s61, s82, 24                                    // 000000009974: 8F3D9852
	s_and_b32 s82, s82, 0xffffff                               // 000000009978: 8652FF52 00FFFFFF
	s_mul_i32 s82, s82, s71                                    // 000000009980: 92524752
	s_mul_i32 s61, s60, s61                                    // 000000009984: 923D3D3C
	s_add_u32 s82, s82, s61                                    // 000000009988: 80523D52
	v_mul_lo_u32 v6, v5, s82                                   // 00000000998C: D2850006 0000A505
	v_readlane_b32 s82, v3, 15                                 // 000000009994: D2890052 00011F03
	s_lshr_b32 s61, s82, 24                                    // 00000000999C: 8F3D9852
	s_and_b32 s82, s82, 0xffffff                               // 0000000099A0: 8652FF52 00FFFFFF
	s_mul_i32 s82, s82, s71                                    // 0000000099A8: 92524752
	s_mul_i32 s61, s60, s61                                    // 0000000099AC: 923D3D3C
	s_add_u32 s82, s82, s61                                    // 0000000099B0: 80523D52
	v_mul_lo_u32 v7, v4, s82                                   // 0000000099B4: D2850007 0000A504
	v_add_u32_e32 v61, v6, v7                                  // 0000000099BC: 687A0F06
	v_readlane_b32 s82, v3, 16                                 // 0000000099C0: D2890052 00012103
	s_lshr_b32 s61, s82, 24                                    // 0000000099C8: 8F3D9852
	s_and_b32 s82, s82, 0xffffff                               // 0000000099CC: 8652FF52 00FFFFFF
	s_mul_i32 s82, s82, s71                                    // 0000000099D4: 92524752
	s_mul_i32 s61, s60, s61                                    // 0000000099D8: 923D3D3C
	s_add_u32 s82, s82, s61                                    // 0000000099DC: 80523D52
	v_mul_lo_u32 v6, v5, s82                                   // 0000000099E0: D2850006 0000A505
	v_readlane_b32 s82, v3, 17                                 // 0000000099E8: D2890052 00012303
	s_lshr_b32 s61, s82, 24                                    // 0000000099F0: 8F3D9852
	s_and_b32 s82, s82, 0xffffff                               // 0000000099F4: 8652FF52 00FFFFFF
	s_mul_i32 s82, s82, s71                                    // 0000000099FC: 92524752
	s_mul_i32 s61, s60, s61                                    // 000000009A00: 923D3D3C
	s_add_u32 s82, s82, s61                                    // 000000009A04: 80523D52
	v_mul_lo_u32 v7, v4, s82                                   // 000000009A08: D2850007 0000A504
	v_add_u32_e32 v62, v6, v7                                  // 000000009A10: 687C0F06
	v_readlane_b32 s82, v3, 18                                 // 000000009A14: D2890052 00012503
	s_lshr_b32 s61, s82, 24                                    // 000000009A1C: 8F3D9852
	s_and_b32 s82, s82, 0xffffff                               // 000000009A20: 8652FF52 00FFFFFF
	s_mul_i32 s82, s82, s71                                    // 000000009A28: 92524752
	s_mul_i32 s61, s60, s61                                    // 000000009A2C: 923D3D3C
	s_add_u32 s82, s82, s61                                    // 000000009A30: 80523D52
	v_mul_lo_u32 v6, v5, s82                                   // 000000009A34: D2850006 0000A505
	v_readlane_b32 s82, v3, 19                                 // 000000009A3C: D2890052 00012703
	s_lshr_b32 s61, s82, 24                                    // 000000009A44: 8F3D9852
	s_and_b32 s82, s82, 0xffffff                               // 000000009A48: 8652FF52 00FFFFFF
	s_mul_i32 s82, s82, s71                                    // 000000009A50: 92524752
	s_mul_i32 s61, s60, s61                                    // 000000009A54: 923D3D3C
	s_add_u32 s82, s82, s61                                    // 000000009A58: 80523D52
	v_mul_lo_u32 v7, v4, s82                                   // 000000009A5C: D2850007 0000A504
	v_add_u32_e32 v63, v6, v7                                  // 000000009A64: 687E0F06
	v_readlane_b32 s82, v3, 20                                 // 000000009A68: D2890052 00012903
	s_lshr_b32 s61, s82, 24                                    // 000000009A70: 8F3D9852
	s_and_b32 s82, s82, 0xffffff                               // 000000009A74: 8652FF52 00FFFFFF
	s_mul_i32 s82, s82, s71                                    // 000000009A7C: 92524752
	s_mul_i32 s61, s60, s61                                    // 000000009A80: 923D3D3C
	s_add_u32 s82, s82, s61                                    // 000000009A84: 80523D52
	v_mul_lo_u32 v6, v5, s82                                   // 000000009A88: D2850006 0000A505
	v_readlane_b32 s82, v3, 21                                 // 000000009A90: D2890052 00012B03
	s_lshr_b32 s61, s82, 24                                    // 000000009A98: 8F3D9852
	s_and_b32 s82, s82, 0xffffff                               // 000000009A9C: 8652FF52 00FFFFFF
	s_mul_i32 s82, s82, s71                                    // 000000009AA4: 92524752
	s_mul_i32 s61, s60, s61                                    // 000000009AA8: 923D3D3C
	s_add_u32 s82, s82, s61                                    // 000000009AAC: 80523D52
	v_mul_lo_u32 v7, v4, s82                                   // 000000009AB0: D2850007 0000A504
	v_add_u32_e32 v64, v6, v7                                  // 000000009AB8: 68800F06
	v_readlane_b32 s82, v3, 22                                 // 000000009ABC: D2890052 00012D03
	s_lshr_b32 s61, s82, 24                                    // 000000009AC4: 8F3D9852
	s_and_b32 s82, s82, 0xffffff                               // 000000009AC8: 8652FF52 00FFFFFF
	s_mul_i32 s82, s82, s71                                    // 000000009AD0: 92524752
	s_mul_i32 s61, s60, s61                                    // 000000009AD4: 923D3D3C
	s_add_u32 s82, s82, s61                                    // 000000009AD8: 80523D52
	v_mul_lo_u32 v6, v5, s82                                   // 000000009ADC: D2850006 0000A505
	v_readlane_b32 s82, v3, 23                                 // 000000009AE4: D2890052 00012F03
	s_lshr_b32 s61, s82, 24                                    // 000000009AEC: 8F3D9852
	s_and_b32 s82, s82, 0xffffff                               // 000000009AF0: 8652FF52 00FFFFFF
	s_mul_i32 s82, s82, s71                                    // 000000009AF8: 92524752
	s_mul_i32 s61, s60, s61                                    // 000000009AFC: 923D3D3C
	s_add_u32 s82, s82, s61                                    // 000000009B00: 80523D52
	v_mul_lo_u32 v7, v4, s82                                   // 000000009B04: D2850007 0000A504
	v_add_u32_e32 v65, v6, v7                                  // 000000009B0C: 68820F06
	v_and_b32_e32 v4, 31, v0                                   // 000000009B10: 2608009F
	v_lshrrev_b32_e32 v4, 1, v4                                // 000000009B14: 20080881
	s_cmp_eq_u32 s88, 0                                        // 000000009B18: BF068058
	s_cselect_b32 s61, 2, 4                                    // 000000009B1C: 853D8482
	v_mul_lo_u32 v4, v4, s61                                   // 000000009B20: D2850004 00007B04
	v_and_b32_e64 v5, v0, 1                                    // 000000009B28: D1130005 00010300
	v_add_u32_e32 v4, v4, v5                                   // 000000009B30: 68080B04
	v_lshlrev_b32_e32 v4, 2, v4                                // 000000009B34: 24080882
	v_add_u32_e32 v54, v54, v4                                 // 000000009B38: 686C0936
	v_add_u32_e32 v55, v55, v4                                 // 000000009B3C: 686E0937
	v_add_u32_e32 v56, v56, v4                                 // 000000009B40: 68700938
	v_add_u32_e32 v57, v57, v4                                 // 000000009B44: 68720939
	v_add_u32_e32 v58, v58, v4                                 // 000000009B48: 6874093A
	v_add_u32_e32 v59, v59, v4                                 // 000000009B4C: 6876093B
	v_add_u32_e32 v60, v60, v4                                 // 000000009B50: 6878093C
	v_add_u32_e32 v61, v61, v4                                 // 000000009B54: 687A093D
	v_add_u32_e32 v62, v62, v4                                 // 000000009B58: 687C093E
	v_add_u32_e32 v63, v63, v4                                 // 000000009B5C: 687E093F
	v_add_u32_e32 v64, v64, v4                                 // 000000009B60: 68800940
	v_add_u32_e32 v65, v65, v4                                 // 000000009B64: 68820941
	s_waitcnt lgkmcnt(0)                                       // 000000009B68: BF8CC07F
	s_barrier                                                  // 000000009B6C: BF8A0000
	ds_read_b32 v68, v21                                       // 000000009B70: D86C0000 44000015
	ds_read_b32 v69, v21 offset:64                             // 000000009B78: D86C0040 45000015
	ds_read_b32 v72, v21 offset:2176                           // 000000009B80: D86C0880 48000015
	ds_read_b32 v73, v21 offset:2240                           // 000000009B88: D86C08C0 49000015
	ds_read_b32 v76, v21 offset:4352                           // 000000009B90: D86C1100 4C000015
	ds_read_b32 v77, v21 offset:4416                           // 000000009B98: D86C1140 4D000015
	ds_read_b32 v80, v21 offset:6528                           // 000000009BA0: D86C1980 50000015
	ds_read_b32 v81, v21 offset:6592                           // 000000009BA8: D86C19C0 51000015
	ds_read_b32 v84, v21 offset:8704                           // 000000009BB0: D86C2200 54000015
	ds_read_b32 v85, v21 offset:8768                           // 000000009BB8: D86C2240 55000015
	ds_read_b32 v88, v21 offset:10880                          // 000000009BC0: D86C2A80 58000015
	ds_read_b32 v89, v21 offset:10944                          // 000000009BC8: D86C2AC0 59000015
	s_waitcnt lgkmcnt(0)                                       // 000000009BD0: BF8CC07F
	s_mov_b32 s36, -1                                          // 000000009BD4: BEA400C1
	s_mov_b32 s37, -1                                          // 000000009BD8: BEA500C1
	v_mov_b32_e32 v7, 0                                        // 000000009BDC: 7E0E0280
	s_mov_b64 exec, s[36:37]                                   // 000000009BE0: BEFE0124
	v_mov_b32_e32 v6, v54                                      // 000000009BE4: 7E0C0336
	s_mov_b64 s[60:61], 0                                      // 000000009BE8: BEBC0180
	v_readlane_b32 s82, v3, 0                                  // 000000009BEC: D2890052 00010103
	s_and_b32 s82, s82, 0xffffff                               // 000000009BF4: 8652FF52 00FFFFFF
	s_cmp_lt_u32 s82, s66                                      // 000000009BFC: BF0A4252
	s_cselect_b32 s20, s36, s60                                // 000000009C00: 85143C24
	v_readlane_b32 s82, v3, 1                                  // 000000009C04: D2890052 00010303
	s_and_b32 s82, s82, 0xffffff                               // 000000009C0C: 8652FF52 00FFFFFF
	s_cmp_lt_u32 s82, s66                                      // 000000009C14: BF0A4252
	s_cselect_b32 s21, s36, s60                                // 000000009C18: 85153C24
	s_mov_b64 exec, s[20:21]                                   // 000000009C1C: BEFE0114
	global_atomic_add_f32 v6, v68, s[8:9]                      // 000000009C20: DD348000 00084406
	s_mov_b64 exec, s[36:37]                                   // 000000009C28: BEFE0124
	v_mov_b32_e32 v6, v55                                      // 000000009C2C: 7E0C0337
	s_mov_b64 s[60:61], 0                                      // 000000009C30: BEBC0180
	v_readlane_b32 s82, v3, 2                                  // 000000009C34: D2890052 00010503
	s_and_b32 s82, s82, 0xffffff                               // 000000009C3C: 8652FF52 00FFFFFF
	s_cmp_lt_u32 s82, s66                                      // 000000009C44: BF0A4252
	s_cselect_b32 s20, s36, s60                                // 000000009C48: 85143C24
	v_readlane_b32 s82, v3, 3                                  // 000000009C4C: D2890052 00010703
	s_and_b32 s82, s82, 0xffffff                               // 000000009C54: 8652FF52 00FFFFFF
	s_cmp_lt_u32 s82, s66                                      // 000000009C5C: BF0A4252
	s_cselect_b32 s21, s36, s60                                // 000000009C60: 85153C24
	s_mov_b64 exec, s[20:21]                                   // 000000009C64: BEFE0114
	global_atomic_add_f32 v6, v69, s[8:9]                      // 000000009C68: DD348000 00084506
	s_mov_b64 exec, s[36:37]                                   // 000000009C70: BEFE0124
	v_mov_b32_e32 v6, v56                                      // 000000009C74: 7E0C0338
	s_mov_b64 s[60:61], 0                                      // 000000009C78: BEBC0180
	v_readlane_b32 s82, v3, 4                                  // 000000009C7C: D2890052 00010903
	s_and_b32 s82, s82, 0xffffff                               // 000000009C84: 8652FF52 00FFFFFF
	s_cmp_lt_u32 s82, s66                                      // 000000009C8C: BF0A4252
	s_cselect_b32 s20, s36, s60                                // 000000009C90: 85143C24
	v_readlane_b32 s82, v3, 5                                  // 000000009C94: D2890052 00010B03
	s_and_b32 s82, s82, 0xffffff                               // 000000009C9C: 8652FF52 00FFFFFF
	s_cmp_lt_u32 s82, s66                                      // 000000009CA4: BF0A4252
	s_cselect_b32 s21, s36, s60                                // 000000009CA8: 85153C24
	s_mov_b64 exec, s[20:21]                                   // 000000009CAC: BEFE0114
	global_atomic_add_f32 v6, v72, s[8:9]                      // 000000009CB0: DD348000 00084806
	s_mov_b64 exec, s[36:37]                                   // 000000009CB8: BEFE0124
	v_mov_b32_e32 v6, v57                                      // 000000009CBC: 7E0C0339
	s_mov_b64 s[60:61], 0                                      // 000000009CC0: BEBC0180
	v_readlane_b32 s82, v3, 6                                  // 000000009CC4: D2890052 00010D03
	s_and_b32 s82, s82, 0xffffff                               // 000000009CCC: 8652FF52 00FFFFFF
	s_cmp_lt_u32 s82, s66                                      // 000000009CD4: BF0A4252
	s_cselect_b32 s20, s36, s60                                // 000000009CD8: 85143C24
	v_readlane_b32 s82, v3, 7                                  // 000000009CDC: D2890052 00010F03
	s_and_b32 s82, s82, 0xffffff                               // 000000009CE4: 8652FF52 00FFFFFF
	s_cmp_lt_u32 s82, s66                                      // 000000009CEC: BF0A4252
	s_cselect_b32 s21, s36, s60                                // 000000009CF0: 85153C24
	s_mov_b64 exec, s[20:21]                                   // 000000009CF4: BEFE0114
	global_atomic_add_f32 v6, v73, s[8:9]                      // 000000009CF8: DD348000 00084906
	s_mov_b64 exec, s[36:37]                                   // 000000009D00: BEFE0124
	v_mov_b32_e32 v6, v58                                      // 000000009D04: 7E0C033A
	s_mov_b64 s[60:61], 0                                      // 000000009D08: BEBC0180
	v_readlane_b32 s82, v3, 8                                  // 000000009D0C: D2890052 00011103
	s_and_b32 s82, s82, 0xffffff                               // 000000009D14: 8652FF52 00FFFFFF
	s_cmp_lt_u32 s82, s66                                      // 000000009D1C: BF0A4252
	s_cselect_b32 s20, s36, s60                                // 000000009D20: 85143C24
	v_readlane_b32 s82, v3, 9                                  // 000000009D24: D2890052 00011303
	s_and_b32 s82, s82, 0xffffff                               // 000000009D2C: 8652FF52 00FFFFFF
	s_cmp_lt_u32 s82, s66                                      // 000000009D34: BF0A4252
	s_cselect_b32 s21, s36, s60                                // 000000009D38: 85153C24
	s_mov_b64 exec, s[20:21]                                   // 000000009D3C: BEFE0114
	global_atomic_add_f32 v6, v76, s[8:9]                      // 000000009D40: DD348000 00084C06
	s_mov_b64 exec, s[36:37]                                   // 000000009D48: BEFE0124
	v_mov_b32_e32 v6, v59                                      // 000000009D4C: 7E0C033B
	s_mov_b64 s[60:61], 0                                      // 000000009D50: BEBC0180
	v_readlane_b32 s82, v3, 10                                 // 000000009D54: D2890052 00011503
	s_and_b32 s82, s82, 0xffffff                               // 000000009D5C: 8652FF52 00FFFFFF
	s_cmp_lt_u32 s82, s66                                      // 000000009D64: BF0A4252
	s_cselect_b32 s20, s36, s60                                // 000000009D68: 85143C24
	v_readlane_b32 s82, v3, 11                                 // 000000009D6C: D2890052 00011703
	s_and_b32 s82, s82, 0xffffff                               // 000000009D74: 8652FF52 00FFFFFF
	s_cmp_lt_u32 s82, s66                                      // 000000009D7C: BF0A4252
	s_cselect_b32 s21, s36, s60                                // 000000009D80: 85153C24
	s_mov_b64 exec, s[20:21]                                   // 000000009D84: BEFE0114
	global_atomic_add_f32 v6, v77, s[8:9]                      // 000000009D88: DD348000 00084D06
	s_mov_b64 exec, s[36:37]                                   // 000000009D90: BEFE0124
	v_mov_b32_e32 v6, v60                                      // 000000009D94: 7E0C033C
	s_mov_b64 s[60:61], 0                                      // 000000009D98: BEBC0180
	v_readlane_b32 s82, v3, 12                                 // 000000009D9C: D2890052 00011903
	s_and_b32 s82, s82, 0xffffff                               // 000000009DA4: 8652FF52 00FFFFFF
	s_cmp_lt_u32 s82, s66                                      // 000000009DAC: BF0A4252
	s_cselect_b32 s20, s36, s60                                // 000000009DB0: 85143C24
	v_readlane_b32 s82, v3, 13                                 // 000000009DB4: D2890052 00011B03
	s_and_b32 s82, s82, 0xffffff                               // 000000009DBC: 8652FF52 00FFFFFF
	s_cmp_lt_u32 s82, s66                                      // 000000009DC4: BF0A4252
	s_cselect_b32 s21, s36, s60                                // 000000009DC8: 85153C24
	s_mov_b64 exec, s[20:21]                                   // 000000009DCC: BEFE0114
	global_atomic_add_f32 v6, v80, s[8:9]                      // 000000009DD0: DD348000 00085006
	s_mov_b64 exec, s[36:37]                                   // 000000009DD8: BEFE0124
	v_mov_b32_e32 v6, v61                                      // 000000009DDC: 7E0C033D
	s_mov_b64 s[60:61], 0                                      // 000000009DE0: BEBC0180
	v_readlane_b32 s82, v3, 14                                 // 000000009DE4: D2890052 00011D03
	s_and_b32 s82, s82, 0xffffff                               // 000000009DEC: 8652FF52 00FFFFFF
	s_cmp_lt_u32 s82, s66                                      // 000000009DF4: BF0A4252
	s_cselect_b32 s20, s36, s60                                // 000000009DF8: 85143C24
	v_readlane_b32 s82, v3, 15                                 // 000000009DFC: D2890052 00011F03
	s_and_b32 s82, s82, 0xffffff                               // 000000009E04: 8652FF52 00FFFFFF
	s_cmp_lt_u32 s82, s66                                      // 000000009E0C: BF0A4252
	s_cselect_b32 s21, s36, s60                                // 000000009E10: 85153C24
	s_mov_b64 exec, s[20:21]                                   // 000000009E14: BEFE0114
	global_atomic_add_f32 v6, v81, s[8:9]                      // 000000009E18: DD348000 00085106
	s_mov_b64 exec, s[36:37]                                   // 000000009E20: BEFE0124
	v_mov_b32_e32 v6, v62                                      // 000000009E24: 7E0C033E
	s_mov_b64 s[60:61], 0                                      // 000000009E28: BEBC0180
	v_readlane_b32 s82, v3, 16                                 // 000000009E2C: D2890052 00012103
	s_and_b32 s82, s82, 0xffffff                               // 000000009E34: 8652FF52 00FFFFFF
	s_cmp_lt_u32 s82, s66                                      // 000000009E3C: BF0A4252
	s_cselect_b32 s20, s36, s60                                // 000000009E40: 85143C24
	v_readlane_b32 s82, v3, 17                                 // 000000009E44: D2890052 00012303
	s_and_b32 s82, s82, 0xffffff                               // 000000009E4C: 8652FF52 00FFFFFF
	s_cmp_lt_u32 s82, s66                                      // 000000009E54: BF0A4252
	s_cselect_b32 s21, s36, s60                                // 000000009E58: 85153C24
	s_mov_b64 exec, s[20:21]                                   // 000000009E5C: BEFE0114
	global_atomic_add_f32 v6, v84, s[8:9]                      // 000000009E60: DD348000 00085406
	s_mov_b64 exec, s[36:37]                                   // 000000009E68: BEFE0124
	v_mov_b32_e32 v6, v63                                      // 000000009E6C: 7E0C033F
	s_mov_b64 s[60:61], 0                                      // 000000009E70: BEBC0180
	v_readlane_b32 s82, v3, 18                                 // 000000009E74: D2890052 00012503
	s_and_b32 s82, s82, 0xffffff                               // 000000009E7C: 8652FF52 00FFFFFF
	s_cmp_lt_u32 s82, s66                                      // 000000009E84: BF0A4252
	s_cselect_b32 s20, s36, s60                                // 000000009E88: 85143C24
	v_readlane_b32 s82, v3, 19                                 // 000000009E8C: D2890052 00012703
	s_and_b32 s82, s82, 0xffffff                               // 000000009E94: 8652FF52 00FFFFFF
	s_cmp_lt_u32 s82, s66                                      // 000000009E9C: BF0A4252
	s_cselect_b32 s21, s36, s60                                // 000000009EA0: 85153C24
	s_mov_b64 exec, s[20:21]                                   // 000000009EA4: BEFE0114
	global_atomic_add_f32 v6, v85, s[8:9]                      // 000000009EA8: DD348000 00085506
	s_mov_b64 exec, s[36:37]                                   // 000000009EB0: BEFE0124
	v_mov_b32_e32 v6, v64                                      // 000000009EB4: 7E0C0340
	s_mov_b64 s[60:61], 0                                      // 000000009EB8: BEBC0180
	v_readlane_b32 s82, v3, 20                                 // 000000009EBC: D2890052 00012903
	s_and_b32 s82, s82, 0xffffff                               // 000000009EC4: 8652FF52 00FFFFFF
	s_cmp_lt_u32 s82, s66                                      // 000000009ECC: BF0A4252
	s_cselect_b32 s20, s36, s60                                // 000000009ED0: 85143C24
	v_readlane_b32 s82, v3, 21                                 // 000000009ED4: D2890052 00012B03
	s_and_b32 s82, s82, 0xffffff                               // 000000009EDC: 8652FF52 00FFFFFF
	s_cmp_lt_u32 s82, s66                                      // 000000009EE4: BF0A4252
	s_cselect_b32 s21, s36, s60                                // 000000009EE8: 85153C24
	s_mov_b64 exec, s[20:21]                                   // 000000009EEC: BEFE0114
	global_atomic_add_f32 v6, v88, s[8:9]                      // 000000009EF0: DD348000 00085806
	s_mov_b64 exec, s[36:37]                                   // 000000009EF8: BEFE0124
	v_mov_b32_e32 v6, v65                                      // 000000009EFC: 7E0C0341
	s_mov_b64 s[60:61], 0                                      // 000000009F00: BEBC0180
	v_readlane_b32 s82, v3, 22                                 // 000000009F04: D2890052 00012D03
	s_and_b32 s82, s82, 0xffffff                               // 000000009F0C: 8652FF52 00FFFFFF
	s_cmp_lt_u32 s82, s66                                      // 000000009F14: BF0A4252
	s_cselect_b32 s20, s36, s60                                // 000000009F18: 85143C24
	v_readlane_b32 s82, v3, 23                                 // 000000009F1C: D2890052 00012F03
	s_and_b32 s82, s82, 0xffffff                               // 000000009F24: 8652FF52 00FFFFFF
	s_cmp_lt_u32 s82, s66                                      // 000000009F2C: BF0A4252
	s_cselect_b32 s21, s36, s60                                // 000000009F30: 85153C24
	s_mov_b64 exec, s[20:21]                                   // 000000009F34: BEFE0114
	global_atomic_add_f32 v6, v89, s[8:9]                      // 000000009F38: DD348000 00085906
	s_mov_b64 exec, s[36:37]                                   // 000000009F40: BEFE0124
	ds_write_b64 v20, v[70:71]                                 // 000000009F44: D89A0000 00004614
	ds_write_b64 v20, v[74:75] offset:2176                     // 000000009F4C: D89A0880 00004A14
	ds_write_b64 v20, v[78:79] offset:4352                     // 000000009F54: D89A1100 00004E14
	ds_write_b64 v20, v[82:83] offset:6528                     // 000000009F5C: D89A1980 00005214
	ds_write_b64 v20, v[86:87] offset:8704                     // 000000009F64: D89A2200 00005614
	ds_write_b64 v20, v[90:91] offset:10880                    // 000000009F6C: D89A2A80 00005A14
	s_waitcnt lgkmcnt(0)                                       // 000000009F74: BF8CC07F
	s_barrier                                                  // 000000009F78: BF8A0000
	ds_read_b32 v70, v21                                       // 000000009F7C: D86C0000 46000015
	ds_read_b32 v71, v21 offset:64                             // 000000009F84: D86C0040 47000015
	ds_read_b32 v74, v21 offset:2176                           // 000000009F8C: D86C0880 4A000015
	ds_read_b32 v75, v21 offset:2240                           // 000000009F94: D86C08C0 4B000015
	ds_read_b32 v78, v21 offset:4352                           // 000000009F9C: D86C1100 4E000015
	ds_read_b32 v79, v21 offset:4416                           // 000000009FA4: D86C1140 4F000015
	ds_read_b32 v82, v21 offset:6528                           // 000000009FAC: D86C1980 52000015
	ds_read_b32 v83, v21 offset:6592                           // 000000009FB4: D86C19C0 53000015
	ds_read_b32 v86, v21 offset:8704                           // 000000009FBC: D86C2200 56000015
	ds_read_b32 v87, v21 offset:8768                           // 000000009FC4: D86C2240 57000015
	ds_read_b32 v90, v21 offset:10880                          // 000000009FCC: D86C2A80 5A000015
	ds_read_b32 v91, v21 offset:10944                          // 000000009FD4: D86C2AC0 5B000015
	s_waitcnt lgkmcnt(0)                                       // 000000009FDC: BF8CC07F
	v_mov_b32_e32 v7, 0                                        // 000000009FE0: 7E0E0280
	s_mov_b64 exec, s[36:37]                                   // 000000009FE4: BEFE0124
	v_mov_b32_e32 v6, v54                                      // 000000009FE8: 7E0C0336
	s_mov_b64 s[60:61], 0                                      // 000000009FEC: BEBC0180
	v_readlane_b32 s82, v3, 0                                  // 000000009FF0: D2890052 00010103
	s_and_b32 s82, s82, 0xffffff                               // 000000009FF8: 8652FF52 00FFFFFF
	s_cmp_lt_u32 s82, s66                                      // 00000000A000: BF0A4252
	s_cselect_b32 s20, s36, s60                                // 00000000A004: 85143C24
	v_readlane_b32 s82, v3, 1                                  // 00000000A008: D2890052 00010303
	s_and_b32 s82, s82, 0xffffff                               // 00000000A010: 8652FF52 00FFFFFF
	s_cmp_lt_u32 s82, s66                                      // 00000000A018: BF0A4252
	s_cselect_b32 s21, s36, s60                                // 00000000A01C: 85153C24
	s_mov_b64 exec, s[20:21]                                   // 00000000A020: BEFE0114
	global_atomic_add_f32 v6, v70, s[8:9] offset:8             // 00000000A024: DD348008 00084606
	s_mov_b64 exec, s[36:37]                                   // 00000000A02C: BEFE0124
	v_mov_b32_e32 v6, v55                                      // 00000000A030: 7E0C0337
	s_mov_b64 s[60:61], 0                                      // 00000000A034: BEBC0180
	v_readlane_b32 s82, v3, 2                                  // 00000000A038: D2890052 00010503
	s_and_b32 s82, s82, 0xffffff                               // 00000000A040: 8652FF52 00FFFFFF
	s_cmp_lt_u32 s82, s66                                      // 00000000A048: BF0A4252
	s_cselect_b32 s20, s36, s60                                // 00000000A04C: 85143C24
	v_readlane_b32 s82, v3, 3                                  // 00000000A050: D2890052 00010703
	s_and_b32 s82, s82, 0xffffff                               // 00000000A058: 8652FF52 00FFFFFF
	s_cmp_lt_u32 s82, s66                                      // 00000000A060: BF0A4252
	s_cselect_b32 s21, s36, s60                                // 00000000A064: 85153C24
	s_mov_b64 exec, s[20:21]                                   // 00000000A068: BEFE0114
	global_atomic_add_f32 v6, v71, s[8:9] offset:8             // 00000000A06C: DD348008 00084706
	s_mov_b64 exec, s[36:37]                                   // 00000000A074: BEFE0124
	v_mov_b32_e32 v6, v56                                      // 00000000A078: 7E0C0338
	s_mov_b64 s[60:61], 0                                      // 00000000A07C: BEBC0180
	v_readlane_b32 s82, v3, 4                                  // 00000000A080: D2890052 00010903
	s_and_b32 s82, s82, 0xffffff                               // 00000000A088: 8652FF52 00FFFFFF
	s_cmp_lt_u32 s82, s66                                      // 00000000A090: BF0A4252
	s_cselect_b32 s20, s36, s60                                // 00000000A094: 85143C24
	v_readlane_b32 s82, v3, 5                                  // 00000000A098: D2890052 00010B03
	s_and_b32 s82, s82, 0xffffff                               // 00000000A0A0: 8652FF52 00FFFFFF
	s_cmp_lt_u32 s82, s66                                      // 00000000A0A8: BF0A4252
	s_cselect_b32 s21, s36, s60                                // 00000000A0AC: 85153C24
	s_mov_b64 exec, s[20:21]                                   // 00000000A0B0: BEFE0114
	global_atomic_add_f32 v6, v74, s[8:9] offset:8             // 00000000A0B4: DD348008 00084A06
	s_mov_b64 exec, s[36:37]                                   // 00000000A0BC: BEFE0124
	v_mov_b32_e32 v6, v57                                      // 00000000A0C0: 7E0C0339
	s_mov_b64 s[60:61], 0                                      // 00000000A0C4: BEBC0180
	v_readlane_b32 s82, v3, 6                                  // 00000000A0C8: D2890052 00010D03
	s_and_b32 s82, s82, 0xffffff                               // 00000000A0D0: 8652FF52 00FFFFFF
	s_cmp_lt_u32 s82, s66                                      // 00000000A0D8: BF0A4252
	s_cselect_b32 s20, s36, s60                                // 00000000A0DC: 85143C24
	v_readlane_b32 s82, v3, 7                                  // 00000000A0E0: D2890052 00010F03
	s_and_b32 s82, s82, 0xffffff                               // 00000000A0E8: 8652FF52 00FFFFFF
	s_cmp_lt_u32 s82, s66                                      // 00000000A0F0: BF0A4252
	s_cselect_b32 s21, s36, s60                                // 00000000A0F4: 85153C24
	s_mov_b64 exec, s[20:21]                                   // 00000000A0F8: BEFE0114
	global_atomic_add_f32 v6, v75, s[8:9] offset:8             // 00000000A0FC: DD348008 00084B06
	s_mov_b64 exec, s[36:37]                                   // 00000000A104: BEFE0124
	v_mov_b32_e32 v6, v58                                      // 00000000A108: 7E0C033A
	s_mov_b64 s[60:61], 0                                      // 00000000A10C: BEBC0180
	v_readlane_b32 s82, v3, 8                                  // 00000000A110: D2890052 00011103
	s_and_b32 s82, s82, 0xffffff                               // 00000000A118: 8652FF52 00FFFFFF
	s_cmp_lt_u32 s82, s66                                      // 00000000A120: BF0A4252
	s_cselect_b32 s20, s36, s60                                // 00000000A124: 85143C24
	v_readlane_b32 s82, v3, 9                                  // 00000000A128: D2890052 00011303
	s_and_b32 s82, s82, 0xffffff                               // 00000000A130: 8652FF52 00FFFFFF
	s_cmp_lt_u32 s82, s66                                      // 00000000A138: BF0A4252
	s_cselect_b32 s21, s36, s60                                // 00000000A13C: 85153C24
	s_mov_b64 exec, s[20:21]                                   // 00000000A140: BEFE0114
	global_atomic_add_f32 v6, v78, s[8:9] offset:8             // 00000000A144: DD348008 00084E06
	s_mov_b64 exec, s[36:37]                                   // 00000000A14C: BEFE0124
	v_mov_b32_e32 v6, v59                                      // 00000000A150: 7E0C033B
	s_mov_b64 s[60:61], 0                                      // 00000000A154: BEBC0180
	v_readlane_b32 s82, v3, 10                                 // 00000000A158: D2890052 00011503
	s_and_b32 s82, s82, 0xffffff                               // 00000000A160: 8652FF52 00FFFFFF
	s_cmp_lt_u32 s82, s66                                      // 00000000A168: BF0A4252
	s_cselect_b32 s20, s36, s60                                // 00000000A16C: 85143C24
	v_readlane_b32 s82, v3, 11                                 // 00000000A170: D2890052 00011703
	s_and_b32 s82, s82, 0xffffff                               // 00000000A178: 8652FF52 00FFFFFF
	s_cmp_lt_u32 s82, s66                                      // 00000000A180: BF0A4252
	s_cselect_b32 s21, s36, s60                                // 00000000A184: 85153C24
	s_mov_b64 exec, s[20:21]                                   // 00000000A188: BEFE0114
	global_atomic_add_f32 v6, v79, s[8:9] offset:8             // 00000000A18C: DD348008 00084F06
	s_mov_b64 exec, s[36:37]                                   // 00000000A194: BEFE0124
	v_mov_b32_e32 v6, v60                                      // 00000000A198: 7E0C033C
	s_mov_b64 s[60:61], 0                                      // 00000000A19C: BEBC0180
	v_readlane_b32 s82, v3, 12                                 // 00000000A1A0: D2890052 00011903
	s_and_b32 s82, s82, 0xffffff                               // 00000000A1A8: 8652FF52 00FFFFFF
	s_cmp_lt_u32 s82, s66                                      // 00000000A1B0: BF0A4252
	s_cselect_b32 s20, s36, s60                                // 00000000A1B4: 85143C24
	v_readlane_b32 s82, v3, 13                                 // 00000000A1B8: D2890052 00011B03
	s_and_b32 s82, s82, 0xffffff                               // 00000000A1C0: 8652FF52 00FFFFFF
	s_cmp_lt_u32 s82, s66                                      // 00000000A1C8: BF0A4252
	s_cselect_b32 s21, s36, s60                                // 00000000A1CC: 85153C24
	s_mov_b64 exec, s[20:21]                                   // 00000000A1D0: BEFE0114
	global_atomic_add_f32 v6, v82, s[8:9] offset:8             // 00000000A1D4: DD348008 00085206
	s_mov_b64 exec, s[36:37]                                   // 00000000A1DC: BEFE0124
	v_mov_b32_e32 v6, v61                                      // 00000000A1E0: 7E0C033D
	s_mov_b64 s[60:61], 0                                      // 00000000A1E4: BEBC0180
	v_readlane_b32 s82, v3, 14                                 // 00000000A1E8: D2890052 00011D03
	s_and_b32 s82, s82, 0xffffff                               // 00000000A1F0: 8652FF52 00FFFFFF
	s_cmp_lt_u32 s82, s66                                      // 00000000A1F8: BF0A4252
	s_cselect_b32 s20, s36, s60                                // 00000000A1FC: 85143C24
	v_readlane_b32 s82, v3, 15                                 // 00000000A200: D2890052 00011F03
	s_and_b32 s82, s82, 0xffffff                               // 00000000A208: 8652FF52 00FFFFFF
	s_cmp_lt_u32 s82, s66                                      // 00000000A210: BF0A4252
	s_cselect_b32 s21, s36, s60                                // 00000000A214: 85153C24
	s_mov_b64 exec, s[20:21]                                   // 00000000A218: BEFE0114
	global_atomic_add_f32 v6, v83, s[8:9] offset:8             // 00000000A21C: DD348008 00085306
	s_mov_b64 exec, s[36:37]                                   // 00000000A224: BEFE0124
	v_mov_b32_e32 v6, v62                                      // 00000000A228: 7E0C033E
	s_mov_b64 s[60:61], 0                                      // 00000000A22C: BEBC0180
	v_readlane_b32 s82, v3, 16                                 // 00000000A230: D2890052 00012103
	s_and_b32 s82, s82, 0xffffff                               // 00000000A238: 8652FF52 00FFFFFF
	s_cmp_lt_u32 s82, s66                                      // 00000000A240: BF0A4252
	s_cselect_b32 s20, s36, s60                                // 00000000A244: 85143C24
	v_readlane_b32 s82, v3, 17                                 // 00000000A248: D2890052 00012303
	s_and_b32 s82, s82, 0xffffff                               // 00000000A250: 8652FF52 00FFFFFF
	s_cmp_lt_u32 s82, s66                                      // 00000000A258: BF0A4252
	s_cselect_b32 s21, s36, s60                                // 00000000A25C: 85153C24
	s_mov_b64 exec, s[20:21]                                   // 00000000A260: BEFE0114
	global_atomic_add_f32 v6, v86, s[8:9] offset:8             // 00000000A264: DD348008 00085606
	s_mov_b64 exec, s[36:37]                                   // 00000000A26C: BEFE0124
	v_mov_b32_e32 v6, v63                                      // 00000000A270: 7E0C033F
	s_mov_b64 s[60:61], 0                                      // 00000000A274: BEBC0180
	v_readlane_b32 s82, v3, 18                                 // 00000000A278: D2890052 00012503
	s_and_b32 s82, s82, 0xffffff                               // 00000000A280: 8652FF52 00FFFFFF
	s_cmp_lt_u32 s82, s66                                      // 00000000A288: BF0A4252
	s_cselect_b32 s20, s36, s60                                // 00000000A28C: 85143C24
	v_readlane_b32 s82, v3, 19                                 // 00000000A290: D2890052 00012703
	s_and_b32 s82, s82, 0xffffff                               // 00000000A298: 8652FF52 00FFFFFF
	s_cmp_lt_u32 s82, s66                                      // 00000000A2A0: BF0A4252
	s_cselect_b32 s21, s36, s60                                // 00000000A2A4: 85153C24
	s_mov_b64 exec, s[20:21]                                   // 00000000A2A8: BEFE0114
	global_atomic_add_f32 v6, v87, s[8:9] offset:8             // 00000000A2AC: DD348008 00085706
	s_mov_b64 exec, s[36:37]                                   // 00000000A2B4: BEFE0124
	v_mov_b32_e32 v6, v64                                      // 00000000A2B8: 7E0C0340
	s_mov_b64 s[60:61], 0                                      // 00000000A2BC: BEBC0180
	v_readlane_b32 s82, v3, 20                                 // 00000000A2C0: D2890052 00012903
	s_and_b32 s82, s82, 0xffffff                               // 00000000A2C8: 8652FF52 00FFFFFF
	s_cmp_lt_u32 s82, s66                                      // 00000000A2D0: BF0A4252
	s_cselect_b32 s20, s36, s60                                // 00000000A2D4: 85143C24
	v_readlane_b32 s82, v3, 21                                 // 00000000A2D8: D2890052 00012B03
	s_and_b32 s82, s82, 0xffffff                               // 00000000A2E0: 8652FF52 00FFFFFF
	s_cmp_lt_u32 s82, s66                                      // 00000000A2E8: BF0A4252
	s_cselect_b32 s21, s36, s60                                // 00000000A2EC: 85153C24
	s_mov_b64 exec, s[20:21]                                   // 00000000A2F0: BEFE0114
	global_atomic_add_f32 v6, v90, s[8:9] offset:8             // 00000000A2F4: DD348008 00085A06
	s_mov_b64 exec, s[36:37]                                   // 00000000A2FC: BEFE0124
	v_mov_b32_e32 v6, v65                                      // 00000000A300: 7E0C0341
	s_mov_b64 s[60:61], 0                                      // 00000000A304: BEBC0180
	v_readlane_b32 s82, v3, 22                                 // 00000000A308: D2890052 00012D03
	s_and_b32 s82, s82, 0xffffff                               // 00000000A310: 8652FF52 00FFFFFF
	s_cmp_lt_u32 s82, s66                                      // 00000000A318: BF0A4252
	s_cselect_b32 s20, s36, s60                                // 00000000A31C: 85143C24
	v_readlane_b32 s82, v3, 23                                 // 00000000A320: D2890052 00012F03
	s_and_b32 s82, s82, 0xffffff                               // 00000000A328: 8652FF52 00FFFFFF
	s_cmp_lt_u32 s82, s66                                      // 00000000A330: BF0A4252
	s_cselect_b32 s21, s36, s60                                // 00000000A334: 85153C24
	s_mov_b64 exec, s[20:21]                                   // 00000000A338: BEFE0114
	global_atomic_add_f32 v6, v91, s[8:9] offset:8             // 00000000A33C: DD348008 00085B06
	s_mov_b64 exec, s[36:37]                                   // 00000000A344: BEFE0124
	ds_write_b64 v20, v[92:93]                                 // 00000000A348: D89A0000 00005C14
	ds_write_b64 v20, v[96:97] offset:2176                     // 00000000A350: D89A0880 00006014
	ds_write_b64 v20, v[100:101] offset:4352                   // 00000000A358: D89A1100 00006414
	ds_write_b64 v20, v[104:105] offset:6528                   // 00000000A360: D89A1980 00006814
	ds_write_b64 v20, v[108:109] offset:8704                   // 00000000A368: D89A2200 00006C14
	ds_write_b64 v20, v[112:113] offset:10880                  // 00000000A370: D89A2A80 00007014
	s_waitcnt lgkmcnt(0)                                       // 00000000A378: BF8CC07F
	s_barrier                                                  // 00000000A37C: BF8A0000
	ds_read_b32 v92, v21                                       // 00000000A380: D86C0000 5C000015
	ds_read_b32 v93, v21 offset:64                             // 00000000A388: D86C0040 5D000015
	ds_read_b32 v96, v21 offset:2176                           // 00000000A390: D86C0880 60000015
	ds_read_b32 v97, v21 offset:2240                           // 00000000A398: D86C08C0 61000015
	ds_read_b32 v100, v21 offset:4352                          // 00000000A3A0: D86C1100 64000015
	ds_read_b32 v101, v21 offset:4416                          // 00000000A3A8: D86C1140 65000015
	ds_read_b32 v104, v21 offset:6528                          // 00000000A3B0: D86C1980 68000015
	ds_read_b32 v105, v21 offset:6592                          // 00000000A3B8: D86C19C0 69000015
	ds_read_b32 v108, v21 offset:8704                          // 00000000A3C0: D86C2200 6C000015
	ds_read_b32 v109, v21 offset:8768                          // 00000000A3C8: D86C2240 6D000015
	ds_read_b32 v112, v21 offset:10880                         // 00000000A3D0: D86C2A80 70000015
	ds_read_b32 v113, v21 offset:10944                         // 00000000A3D8: D86C2AC0 71000015
	s_mul_i32 s60, s65, 4                                      // 00000000A3E0: 923C8441
	s_add_u32 s8, s60, s8                                      // 00000000A3E4: 8008083C
	s_addc_u32 s9, 0, s9                                       // 00000000A3E8: 82090980
	s_waitcnt lgkmcnt(0)                                       // 00000000A3EC: BF8CC07F
	v_mov_b32_e32 v7, 0                                        // 00000000A3F0: 7E0E0280
	s_mov_b64 exec, s[36:37]                                   // 00000000A3F4: BEFE0124
	v_mov_b32_e32 v6, v54                                      // 00000000A3F8: 7E0C0336
	s_mov_b64 s[60:61], 0                                      // 00000000A3FC: BEBC0180
	v_readlane_b32 s82, v3, 0                                  // 00000000A400: D2890052 00010103
	s_and_b32 s82, s82, 0xffffff                               // 00000000A408: 8652FF52 00FFFFFF
	s_cmp_lt_u32 s82, s66                                      // 00000000A410: BF0A4252
	s_cselect_b32 s20, s36, s60                                // 00000000A414: 85143C24
	v_readlane_b32 s82, v3, 1                                  // 00000000A418: D2890052 00010303
	s_and_b32 s82, s82, 0xffffff                               // 00000000A420: 8652FF52 00FFFFFF
	s_cmp_lt_u32 s82, s66                                      // 00000000A428: BF0A4252
	s_cselect_b32 s21, s36, s60                                // 00000000A42C: 85153C24
	s_mov_b64 exec, s[20:21]                                   // 00000000A430: BEFE0114
	global_atomic_add_f32 v6, v92, s[8:9]                      // 00000000A434: DD348000 00085C06
	s_mov_b64 exec, s[36:37]                                   // 00000000A43C: BEFE0124
	v_mov_b32_e32 v6, v55                                      // 00000000A440: 7E0C0337
	s_mov_b64 s[60:61], 0                                      // 00000000A444: BEBC0180
	v_readlane_b32 s82, v3, 2                                  // 00000000A448: D2890052 00010503
	s_and_b32 s82, s82, 0xffffff                               // 00000000A450: 8652FF52 00FFFFFF
	s_cmp_lt_u32 s82, s66                                      // 00000000A458: BF0A4252
	s_cselect_b32 s20, s36, s60                                // 00000000A45C: 85143C24
	v_readlane_b32 s82, v3, 3                                  // 00000000A460: D2890052 00010703
	s_and_b32 s82, s82, 0xffffff                               // 00000000A468: 8652FF52 00FFFFFF
	s_cmp_lt_u32 s82, s66                                      // 00000000A470: BF0A4252
	s_cselect_b32 s21, s36, s60                                // 00000000A474: 85153C24
	s_mov_b64 exec, s[20:21]                                   // 00000000A478: BEFE0114
	global_atomic_add_f32 v6, v93, s[8:9]                      // 00000000A47C: DD348000 00085D06
	s_mov_b64 exec, s[36:37]                                   // 00000000A484: BEFE0124
	v_mov_b32_e32 v6, v56                                      // 00000000A488: 7E0C0338
	s_mov_b64 s[60:61], 0                                      // 00000000A48C: BEBC0180
	v_readlane_b32 s82, v3, 4                                  // 00000000A490: D2890052 00010903
	s_and_b32 s82, s82, 0xffffff                               // 00000000A498: 8652FF52 00FFFFFF
	s_cmp_lt_u32 s82, s66                                      // 00000000A4A0: BF0A4252
	s_cselect_b32 s20, s36, s60                                // 00000000A4A4: 85143C24
	v_readlane_b32 s82, v3, 5                                  // 00000000A4A8: D2890052 00010B03
	s_and_b32 s82, s82, 0xffffff                               // 00000000A4B0: 8652FF52 00FFFFFF
	s_cmp_lt_u32 s82, s66                                      // 00000000A4B8: BF0A4252
	s_cselect_b32 s21, s36, s60                                // 00000000A4BC: 85153C24
	s_mov_b64 exec, s[20:21]                                   // 00000000A4C0: BEFE0114
	global_atomic_add_f32 v6, v96, s[8:9]                      // 00000000A4C4: DD348000 00086006
	s_mov_b64 exec, s[36:37]                                   // 00000000A4CC: BEFE0124
	v_mov_b32_e32 v6, v57                                      // 00000000A4D0: 7E0C0339
	s_mov_b64 s[60:61], 0                                      // 00000000A4D4: BEBC0180
	v_readlane_b32 s82, v3, 6                                  // 00000000A4D8: D2890052 00010D03
	s_and_b32 s82, s82, 0xffffff                               // 00000000A4E0: 8652FF52 00FFFFFF
	s_cmp_lt_u32 s82, s66                                      // 00000000A4E8: BF0A4252
	s_cselect_b32 s20, s36, s60                                // 00000000A4EC: 85143C24
	v_readlane_b32 s82, v3, 7                                  // 00000000A4F0: D2890052 00010F03
	s_and_b32 s82, s82, 0xffffff                               // 00000000A4F8: 8652FF52 00FFFFFF
	s_cmp_lt_u32 s82, s66                                      // 00000000A500: BF0A4252
	s_cselect_b32 s21, s36, s60                                // 00000000A504: 85153C24
	s_mov_b64 exec, s[20:21]                                   // 00000000A508: BEFE0114
	global_atomic_add_f32 v6, v97, s[8:9]                      // 00000000A50C: DD348000 00086106
	s_mov_b64 exec, s[36:37]                                   // 00000000A514: BEFE0124
	v_mov_b32_e32 v6, v58                                      // 00000000A518: 7E0C033A
	s_mov_b64 s[60:61], 0                                      // 00000000A51C: BEBC0180
	v_readlane_b32 s82, v3, 8                                  // 00000000A520: D2890052 00011103
	s_and_b32 s82, s82, 0xffffff                               // 00000000A528: 8652FF52 00FFFFFF
	s_cmp_lt_u32 s82, s66                                      // 00000000A530: BF0A4252
	s_cselect_b32 s20, s36, s60                                // 00000000A534: 85143C24
	v_readlane_b32 s82, v3, 9                                  // 00000000A538: D2890052 00011303
	s_and_b32 s82, s82, 0xffffff                               // 00000000A540: 8652FF52 00FFFFFF
	s_cmp_lt_u32 s82, s66                                      // 00000000A548: BF0A4252
	s_cselect_b32 s21, s36, s60                                // 00000000A54C: 85153C24
	s_mov_b64 exec, s[20:21]                                   // 00000000A550: BEFE0114
	global_atomic_add_f32 v6, v100, s[8:9]                     // 00000000A554: DD348000 00086406
	s_mov_b64 exec, s[36:37]                                   // 00000000A55C: BEFE0124
	v_mov_b32_e32 v6, v59                                      // 00000000A560: 7E0C033B
	s_mov_b64 s[60:61], 0                                      // 00000000A564: BEBC0180
	v_readlane_b32 s82, v3, 10                                 // 00000000A568: D2890052 00011503
	s_and_b32 s82, s82, 0xffffff                               // 00000000A570: 8652FF52 00FFFFFF
	s_cmp_lt_u32 s82, s66                                      // 00000000A578: BF0A4252
	s_cselect_b32 s20, s36, s60                                // 00000000A57C: 85143C24
	v_readlane_b32 s82, v3, 11                                 // 00000000A580: D2890052 00011703
	s_and_b32 s82, s82, 0xffffff                               // 00000000A588: 8652FF52 00FFFFFF
	s_cmp_lt_u32 s82, s66                                      // 00000000A590: BF0A4252
	s_cselect_b32 s21, s36, s60                                // 00000000A594: 85153C24
	s_mov_b64 exec, s[20:21]                                   // 00000000A598: BEFE0114
	global_atomic_add_f32 v6, v101, s[8:9]                     // 00000000A59C: DD348000 00086506
	s_mov_b64 exec, s[36:37]                                   // 00000000A5A4: BEFE0124
	v_mov_b32_e32 v6, v60                                      // 00000000A5A8: 7E0C033C
	s_mov_b64 s[60:61], 0                                      // 00000000A5AC: BEBC0180
	v_readlane_b32 s82, v3, 12                                 // 00000000A5B0: D2890052 00011903
	s_and_b32 s82, s82, 0xffffff                               // 00000000A5B8: 8652FF52 00FFFFFF
	s_cmp_lt_u32 s82, s66                                      // 00000000A5C0: BF0A4252
	s_cselect_b32 s20, s36, s60                                // 00000000A5C4: 85143C24
	v_readlane_b32 s82, v3, 13                                 // 00000000A5C8: D2890052 00011B03
	s_and_b32 s82, s82, 0xffffff                               // 00000000A5D0: 8652FF52 00FFFFFF
	s_cmp_lt_u32 s82, s66                                      // 00000000A5D8: BF0A4252
	s_cselect_b32 s21, s36, s60                                // 00000000A5DC: 85153C24
	s_mov_b64 exec, s[20:21]                                   // 00000000A5E0: BEFE0114
	global_atomic_add_f32 v6, v104, s[8:9]                     // 00000000A5E4: DD348000 00086806
	s_mov_b64 exec, s[36:37]                                   // 00000000A5EC: BEFE0124
	v_mov_b32_e32 v6, v61                                      // 00000000A5F0: 7E0C033D
	s_mov_b64 s[60:61], 0                                      // 00000000A5F4: BEBC0180
	v_readlane_b32 s82, v3, 14                                 // 00000000A5F8: D2890052 00011D03
	s_and_b32 s82, s82, 0xffffff                               // 00000000A600: 8652FF52 00FFFFFF
	s_cmp_lt_u32 s82, s66                                      // 00000000A608: BF0A4252
	s_cselect_b32 s20, s36, s60                                // 00000000A60C: 85143C24
	v_readlane_b32 s82, v3, 15                                 // 00000000A610: D2890052 00011F03
	s_and_b32 s82, s82, 0xffffff                               // 00000000A618: 8652FF52 00FFFFFF
	s_cmp_lt_u32 s82, s66                                      // 00000000A620: BF0A4252
	s_cselect_b32 s21, s36, s60                                // 00000000A624: 85153C24
	s_mov_b64 exec, s[20:21]                                   // 00000000A628: BEFE0114
	global_atomic_add_f32 v6, v105, s[8:9]                     // 00000000A62C: DD348000 00086906
	s_mov_b64 exec, s[36:37]                                   // 00000000A634: BEFE0124
	v_mov_b32_e32 v6, v62                                      // 00000000A638: 7E0C033E
	s_mov_b64 s[60:61], 0                                      // 00000000A63C: BEBC0180
	v_readlane_b32 s82, v3, 16                                 // 00000000A640: D2890052 00012103
	s_and_b32 s82, s82, 0xffffff                               // 00000000A648: 8652FF52 00FFFFFF
	s_cmp_lt_u32 s82, s66                                      // 00000000A650: BF0A4252
	s_cselect_b32 s20, s36, s60                                // 00000000A654: 85143C24
	v_readlane_b32 s82, v3, 17                                 // 00000000A658: D2890052 00012303
	s_and_b32 s82, s82, 0xffffff                               // 00000000A660: 8652FF52 00FFFFFF
	s_cmp_lt_u32 s82, s66                                      // 00000000A668: BF0A4252
	s_cselect_b32 s21, s36, s60                                // 00000000A66C: 85153C24
	s_mov_b64 exec, s[20:21]                                   // 00000000A670: BEFE0114
	global_atomic_add_f32 v6, v108, s[8:9]                     // 00000000A674: DD348000 00086C06
	s_mov_b64 exec, s[36:37]                                   // 00000000A67C: BEFE0124
	v_mov_b32_e32 v6, v63                                      // 00000000A680: 7E0C033F
	s_mov_b64 s[60:61], 0                                      // 00000000A684: BEBC0180
	v_readlane_b32 s82, v3, 18                                 // 00000000A688: D2890052 00012503
	s_and_b32 s82, s82, 0xffffff                               // 00000000A690: 8652FF52 00FFFFFF
	s_cmp_lt_u32 s82, s66                                      // 00000000A698: BF0A4252
	s_cselect_b32 s20, s36, s60                                // 00000000A69C: 85143C24
	v_readlane_b32 s82, v3, 19                                 // 00000000A6A0: D2890052 00012703
	s_and_b32 s82, s82, 0xffffff                               // 00000000A6A8: 8652FF52 00FFFFFF
	s_cmp_lt_u32 s82, s66                                      // 00000000A6B0: BF0A4252
	s_cselect_b32 s21, s36, s60                                // 00000000A6B4: 85153C24
	s_mov_b64 exec, s[20:21]                                   // 00000000A6B8: BEFE0114
	global_atomic_add_f32 v6, v109, s[8:9]                     // 00000000A6BC: DD348000 00086D06
	s_mov_b64 exec, s[36:37]                                   // 00000000A6C4: BEFE0124
	v_mov_b32_e32 v6, v64                                      // 00000000A6C8: 7E0C0340
	s_mov_b64 s[60:61], 0                                      // 00000000A6CC: BEBC0180
	v_readlane_b32 s82, v3, 20                                 // 00000000A6D0: D2890052 00012903
	s_and_b32 s82, s82, 0xffffff                               // 00000000A6D8: 8652FF52 00FFFFFF
	s_cmp_lt_u32 s82, s66                                      // 00000000A6E0: BF0A4252
	s_cselect_b32 s20, s36, s60                                // 00000000A6E4: 85143C24
	v_readlane_b32 s82, v3, 21                                 // 00000000A6E8: D2890052 00012B03
	s_and_b32 s82, s82, 0xffffff                               // 00000000A6F0: 8652FF52 00FFFFFF
	s_cmp_lt_u32 s82, s66                                      // 00000000A6F8: BF0A4252
	s_cselect_b32 s21, s36, s60                                // 00000000A6FC: 85153C24
	s_mov_b64 exec, s[20:21]                                   // 00000000A700: BEFE0114
	global_atomic_add_f32 v6, v112, s[8:9]                     // 00000000A704: DD348000 00087006
	s_mov_b64 exec, s[36:37]                                   // 00000000A70C: BEFE0124
	v_mov_b32_e32 v6, v65                                      // 00000000A710: 7E0C0341
	s_mov_b64 s[60:61], 0                                      // 00000000A714: BEBC0180
	v_readlane_b32 s82, v3, 22                                 // 00000000A718: D2890052 00012D03
	s_and_b32 s82, s82, 0xffffff                               // 00000000A720: 8652FF52 00FFFFFF
	s_cmp_lt_u32 s82, s66                                      // 00000000A728: BF0A4252
	s_cselect_b32 s20, s36, s60                                // 00000000A72C: 85143C24
	v_readlane_b32 s82, v3, 23                                 // 00000000A730: D2890052 00012F03
	s_and_b32 s82, s82, 0xffffff                               // 00000000A738: 8652FF52 00FFFFFF
	s_cmp_lt_u32 s82, s66                                      // 00000000A740: BF0A4252
	s_cselect_b32 s21, s36, s60                                // 00000000A744: 85153C24
	s_mov_b64 exec, s[20:21]                                   // 00000000A748: BEFE0114
	global_atomic_add_f32 v6, v113, s[8:9]                     // 00000000A74C: DD348000 00087106
	s_mov_b64 exec, s[36:37]                                   // 00000000A754: BEFE0124
	ds_write_b64 v20, v[94:95]                                 // 00000000A758: D89A0000 00005E14
	ds_write_b64 v20, v[98:99] offset:2176                     // 00000000A760: D89A0880 00006214
	ds_write_b64 v20, v[102:103] offset:4352                   // 00000000A768: D89A1100 00006614
	ds_write_b64 v20, v[106:107] offset:6528                   // 00000000A770: D89A1980 00006A14
	ds_write_b64 v20, v[110:111] offset:8704                   // 00000000A778: D89A2200 00006E14
	ds_write_b64 v20, v[114:115] offset:10880                  // 00000000A780: D89A2A80 00007214
	s_waitcnt lgkmcnt(0)                                       // 00000000A788: BF8CC07F
	s_barrier                                                  // 00000000A78C: BF8A0000
	ds_read_b32 v94, v21                                       // 00000000A790: D86C0000 5E000015
	ds_read_b32 v95, v21 offset:64                             // 00000000A798: D86C0040 5F000015
	ds_read_b32 v98, v21 offset:2176                           // 00000000A7A0: D86C0880 62000015
	ds_read_b32 v99, v21 offset:2240                           // 00000000A7A8: D86C08C0 63000015
	ds_read_b32 v102, v21 offset:4352                          // 00000000A7B0: D86C1100 66000015
	ds_read_b32 v103, v21 offset:4416                          // 00000000A7B8: D86C1140 67000015
	ds_read_b32 v106, v21 offset:6528                          // 00000000A7C0: D86C1980 6A000015
	ds_read_b32 v107, v21 offset:6592                          // 00000000A7C8: D86C19C0 6B000015
	ds_read_b32 v110, v21 offset:8704                          // 00000000A7D0: D86C2200 6E000015
	ds_read_b32 v111, v21 offset:8768                          // 00000000A7D8: D86C2240 6F000015
	ds_read_b32 v114, v21 offset:10880                         // 00000000A7E0: D86C2A80 72000015
	ds_read_b32 v115, v21 offset:10944                         // 00000000A7E8: D86C2AC0 73000015
	s_waitcnt lgkmcnt(0)                                       // 00000000A7F0: BF8CC07F
	v_mov_b32_e32 v7, 0                                        // 00000000A7F4: 7E0E0280
	s_mov_b64 exec, s[36:37]                                   // 00000000A7F8: BEFE0124
	v_mov_b32_e32 v6, v54                                      // 00000000A7FC: 7E0C0336
	s_mov_b64 s[60:61], 0                                      // 00000000A800: BEBC0180
	v_readlane_b32 s82, v3, 0                                  // 00000000A804: D2890052 00010103
	s_and_b32 s82, s82, 0xffffff                               // 00000000A80C: 8652FF52 00FFFFFF
	s_cmp_lt_u32 s82, s66                                      // 00000000A814: BF0A4252
	s_cselect_b32 s20, s36, s60                                // 00000000A818: 85143C24
	v_readlane_b32 s82, v3, 1                                  // 00000000A81C: D2890052 00010303
	s_and_b32 s82, s82, 0xffffff                               // 00000000A824: 8652FF52 00FFFFFF
	s_cmp_lt_u32 s82, s66                                      // 00000000A82C: BF0A4252
	s_cselect_b32 s21, s36, s60                                // 00000000A830: 85153C24
	s_mov_b64 exec, s[20:21]                                   // 00000000A834: BEFE0114
	global_atomic_add_f32 v6, v94, s[8:9] offset:8             // 00000000A838: DD348008 00085E06
	s_mov_b64 exec, s[36:37]                                   // 00000000A840: BEFE0124
	v_mov_b32_e32 v6, v55                                      // 00000000A844: 7E0C0337
	s_mov_b64 s[60:61], 0                                      // 00000000A848: BEBC0180
	v_readlane_b32 s82, v3, 2                                  // 00000000A84C: D2890052 00010503
	s_and_b32 s82, s82, 0xffffff                               // 00000000A854: 8652FF52 00FFFFFF
	s_cmp_lt_u32 s82, s66                                      // 00000000A85C: BF0A4252
	s_cselect_b32 s20, s36, s60                                // 00000000A860: 85143C24
	v_readlane_b32 s82, v3, 3                                  // 00000000A864: D2890052 00010703
	s_and_b32 s82, s82, 0xffffff                               // 00000000A86C: 8652FF52 00FFFFFF
	s_cmp_lt_u32 s82, s66                                      // 00000000A874: BF0A4252
	s_cselect_b32 s21, s36, s60                                // 00000000A878: 85153C24
	s_mov_b64 exec, s[20:21]                                   // 00000000A87C: BEFE0114
	global_atomic_add_f32 v6, v95, s[8:9] offset:8             // 00000000A880: DD348008 00085F06
	s_mov_b64 exec, s[36:37]                                   // 00000000A888: BEFE0124
	v_mov_b32_e32 v6, v56                                      // 00000000A88C: 7E0C0338
	s_mov_b64 s[60:61], 0                                      // 00000000A890: BEBC0180
	v_readlane_b32 s82, v3, 4                                  // 00000000A894: D2890052 00010903
	s_and_b32 s82, s82, 0xffffff                               // 00000000A89C: 8652FF52 00FFFFFF
	s_cmp_lt_u32 s82, s66                                      // 00000000A8A4: BF0A4252
	s_cselect_b32 s20, s36, s60                                // 00000000A8A8: 85143C24
	v_readlane_b32 s82, v3, 5                                  // 00000000A8AC: D2890052 00010B03
	s_and_b32 s82, s82, 0xffffff                               // 00000000A8B4: 8652FF52 00FFFFFF
	s_cmp_lt_u32 s82, s66                                      // 00000000A8BC: BF0A4252
	s_cselect_b32 s21, s36, s60                                // 00000000A8C0: 85153C24
	s_mov_b64 exec, s[20:21]                                   // 00000000A8C4: BEFE0114
	global_atomic_add_f32 v6, v98, s[8:9] offset:8             // 00000000A8C8: DD348008 00086206
	s_mov_b64 exec, s[36:37]                                   // 00000000A8D0: BEFE0124
	v_mov_b32_e32 v6, v57                                      // 00000000A8D4: 7E0C0339
	s_mov_b64 s[60:61], 0                                      // 00000000A8D8: BEBC0180
	v_readlane_b32 s82, v3, 6                                  // 00000000A8DC: D2890052 00010D03
	s_and_b32 s82, s82, 0xffffff                               // 00000000A8E4: 8652FF52 00FFFFFF
	s_cmp_lt_u32 s82, s66                                      // 00000000A8EC: BF0A4252
	s_cselect_b32 s20, s36, s60                                // 00000000A8F0: 85143C24
	v_readlane_b32 s82, v3, 7                                  // 00000000A8F4: D2890052 00010F03
	s_and_b32 s82, s82, 0xffffff                               // 00000000A8FC: 8652FF52 00FFFFFF
	s_cmp_lt_u32 s82, s66                                      // 00000000A904: BF0A4252
	s_cselect_b32 s21, s36, s60                                // 00000000A908: 85153C24
	s_mov_b64 exec, s[20:21]                                   // 00000000A90C: BEFE0114
	global_atomic_add_f32 v6, v99, s[8:9] offset:8             // 00000000A910: DD348008 00086306
	s_mov_b64 exec, s[36:37]                                   // 00000000A918: BEFE0124
	v_mov_b32_e32 v6, v58                                      // 00000000A91C: 7E0C033A
	s_mov_b64 s[60:61], 0                                      // 00000000A920: BEBC0180
	v_readlane_b32 s82, v3, 8                                  // 00000000A924: D2890052 00011103
	s_and_b32 s82, s82, 0xffffff                               // 00000000A92C: 8652FF52 00FFFFFF
	s_cmp_lt_u32 s82, s66                                      // 00000000A934: BF0A4252
	s_cselect_b32 s20, s36, s60                                // 00000000A938: 85143C24
	v_readlane_b32 s82, v3, 9                                  // 00000000A93C: D2890052 00011303
	s_and_b32 s82, s82, 0xffffff                               // 00000000A944: 8652FF52 00FFFFFF
	s_cmp_lt_u32 s82, s66                                      // 00000000A94C: BF0A4252
	s_cselect_b32 s21, s36, s60                                // 00000000A950: 85153C24
	s_mov_b64 exec, s[20:21]                                   // 00000000A954: BEFE0114
	global_atomic_add_f32 v6, v102, s[8:9] offset:8            // 00000000A958: DD348008 00086606
	s_mov_b64 exec, s[36:37]                                   // 00000000A960: BEFE0124
	v_mov_b32_e32 v6, v59                                      // 00000000A964: 7E0C033B
	s_mov_b64 s[60:61], 0                                      // 00000000A968: BEBC0180
	v_readlane_b32 s82, v3, 10                                 // 00000000A96C: D2890052 00011503
	s_and_b32 s82, s82, 0xffffff                               // 00000000A974: 8652FF52 00FFFFFF
	s_cmp_lt_u32 s82, s66                                      // 00000000A97C: BF0A4252
	s_cselect_b32 s20, s36, s60                                // 00000000A980: 85143C24
	v_readlane_b32 s82, v3, 11                                 // 00000000A984: D2890052 00011703
	s_and_b32 s82, s82, 0xffffff                               // 00000000A98C: 8652FF52 00FFFFFF
	s_cmp_lt_u32 s82, s66                                      // 00000000A994: BF0A4252
	s_cselect_b32 s21, s36, s60                                // 00000000A998: 85153C24
	s_mov_b64 exec, s[20:21]                                   // 00000000A99C: BEFE0114
	global_atomic_add_f32 v6, v103, s[8:9] offset:8            // 00000000A9A0: DD348008 00086706
	s_mov_b64 exec, s[36:37]                                   // 00000000A9A8: BEFE0124
	v_mov_b32_e32 v6, v60                                      // 00000000A9AC: 7E0C033C
	s_mov_b64 s[60:61], 0                                      // 00000000A9B0: BEBC0180
	v_readlane_b32 s82, v3, 12                                 // 00000000A9B4: D2890052 00011903
	s_and_b32 s82, s82, 0xffffff                               // 00000000A9BC: 8652FF52 00FFFFFF
	s_cmp_lt_u32 s82, s66                                      // 00000000A9C4: BF0A4252
	s_cselect_b32 s20, s36, s60                                // 00000000A9C8: 85143C24
	v_readlane_b32 s82, v3, 13                                 // 00000000A9CC: D2890052 00011B03
	s_and_b32 s82, s82, 0xffffff                               // 00000000A9D4: 8652FF52 00FFFFFF
	s_cmp_lt_u32 s82, s66                                      // 00000000A9DC: BF0A4252
	s_cselect_b32 s21, s36, s60                                // 00000000A9E0: 85153C24
	s_mov_b64 exec, s[20:21]                                   // 00000000A9E4: BEFE0114
	global_atomic_add_f32 v6, v106, s[8:9] offset:8            // 00000000A9E8: DD348008 00086A06
	s_mov_b64 exec, s[36:37]                                   // 00000000A9F0: BEFE0124
	v_mov_b32_e32 v6, v61                                      // 00000000A9F4: 7E0C033D
	s_mov_b64 s[60:61], 0                                      // 00000000A9F8: BEBC0180
	v_readlane_b32 s82, v3, 14                                 // 00000000A9FC: D2890052 00011D03
	s_and_b32 s82, s82, 0xffffff                               // 00000000AA04: 8652FF52 00FFFFFF
	s_cmp_lt_u32 s82, s66                                      // 00000000AA0C: BF0A4252
	s_cselect_b32 s20, s36, s60                                // 00000000AA10: 85143C24
	v_readlane_b32 s82, v3, 15                                 // 00000000AA14: D2890052 00011F03
	s_and_b32 s82, s82, 0xffffff                               // 00000000AA1C: 8652FF52 00FFFFFF
	s_cmp_lt_u32 s82, s66                                      // 00000000AA24: BF0A4252
	s_cselect_b32 s21, s36, s60                                // 00000000AA28: 85153C24
	s_mov_b64 exec, s[20:21]                                   // 00000000AA2C: BEFE0114
	global_atomic_add_f32 v6, v107, s[8:9] offset:8            // 00000000AA30: DD348008 00086B06
	s_mov_b64 exec, s[36:37]                                   // 00000000AA38: BEFE0124
	v_mov_b32_e32 v6, v62                                      // 00000000AA3C: 7E0C033E
	s_mov_b64 s[60:61], 0                                      // 00000000AA40: BEBC0180
	v_readlane_b32 s82, v3, 16                                 // 00000000AA44: D2890052 00012103
	s_and_b32 s82, s82, 0xffffff                               // 00000000AA4C: 8652FF52 00FFFFFF
	s_cmp_lt_u32 s82, s66                                      // 00000000AA54: BF0A4252
	s_cselect_b32 s20, s36, s60                                // 00000000AA58: 85143C24
	v_readlane_b32 s82, v3, 17                                 // 00000000AA5C: D2890052 00012303
	s_and_b32 s82, s82, 0xffffff                               // 00000000AA64: 8652FF52 00FFFFFF
	s_cmp_lt_u32 s82, s66                                      // 00000000AA6C: BF0A4252
	s_cselect_b32 s21, s36, s60                                // 00000000AA70: 85153C24
	s_mov_b64 exec, s[20:21]                                   // 00000000AA74: BEFE0114
	global_atomic_add_f32 v6, v110, s[8:9] offset:8            // 00000000AA78: DD348008 00086E06
	s_mov_b64 exec, s[36:37]                                   // 00000000AA80: BEFE0124
	v_mov_b32_e32 v6, v63                                      // 00000000AA84: 7E0C033F
	s_mov_b64 s[60:61], 0                                      // 00000000AA88: BEBC0180
	v_readlane_b32 s82, v3, 18                                 // 00000000AA8C: D2890052 00012503
	s_and_b32 s82, s82, 0xffffff                               // 00000000AA94: 8652FF52 00FFFFFF
	s_cmp_lt_u32 s82, s66                                      // 00000000AA9C: BF0A4252
	s_cselect_b32 s20, s36, s60                                // 00000000AAA0: 85143C24
	v_readlane_b32 s82, v3, 19                                 // 00000000AAA4: D2890052 00012703
	s_and_b32 s82, s82, 0xffffff                               // 00000000AAAC: 8652FF52 00FFFFFF
	s_cmp_lt_u32 s82, s66                                      // 00000000AAB4: BF0A4252
	s_cselect_b32 s21, s36, s60                                // 00000000AAB8: 85153C24
	s_mov_b64 exec, s[20:21]                                   // 00000000AABC: BEFE0114
	global_atomic_add_f32 v6, v111, s[8:9] offset:8            // 00000000AAC0: DD348008 00086F06
	s_mov_b64 exec, s[36:37]                                   // 00000000AAC8: BEFE0124
	v_mov_b32_e32 v6, v64                                      // 00000000AACC: 7E0C0340
	s_mov_b64 s[60:61], 0                                      // 00000000AAD0: BEBC0180
	v_readlane_b32 s82, v3, 20                                 // 00000000AAD4: D2890052 00012903
	s_and_b32 s82, s82, 0xffffff                               // 00000000AADC: 8652FF52 00FFFFFF
	s_cmp_lt_u32 s82, s66                                      // 00000000AAE4: BF0A4252
	s_cselect_b32 s20, s36, s60                                // 00000000AAE8: 85143C24
	v_readlane_b32 s82, v3, 21                                 // 00000000AAEC: D2890052 00012B03
	s_and_b32 s82, s82, 0xffffff                               // 00000000AAF4: 8652FF52 00FFFFFF
	s_cmp_lt_u32 s82, s66                                      // 00000000AAFC: BF0A4252
	s_cselect_b32 s21, s36, s60                                // 00000000AB00: 85153C24
	s_mov_b64 exec, s[20:21]                                   // 00000000AB04: BEFE0114
	global_atomic_add_f32 v6, v114, s[8:9] offset:8            // 00000000AB08: DD348008 00087206
	s_mov_b64 exec, s[36:37]                                   // 00000000AB10: BEFE0124
	v_mov_b32_e32 v6, v65                                      // 00000000AB14: 7E0C0341
	s_mov_b64 s[60:61], 0                                      // 00000000AB18: BEBC0180
	v_readlane_b32 s82, v3, 22                                 // 00000000AB1C: D2890052 00012D03
	s_and_b32 s82, s82, 0xffffff                               // 00000000AB24: 8652FF52 00FFFFFF
	s_cmp_lt_u32 s82, s66                                      // 00000000AB2C: BF0A4252
	s_cselect_b32 s20, s36, s60                                // 00000000AB30: 85143C24
	v_readlane_b32 s82, v3, 23                                 // 00000000AB34: D2890052 00012F03
	s_and_b32 s82, s82, 0xffffff                               // 00000000AB3C: 8652FF52 00FFFFFF
	s_cmp_lt_u32 s82, s66                                      // 00000000AB44: BF0A4252
	s_cselect_b32 s21, s36, s60                                // 00000000AB48: 85153C24
	s_mov_b64 exec, s[20:21]                                   // 00000000AB4C: BEFE0114
	global_atomic_add_f32 v6, v115, s[8:9] offset:8            // 00000000AB50: DD348008 00087306
	s_mov_b64 exec, s[36:37]                                   // 00000000AB58: BEFE0124
	s_branch label_209B                                        // 00000000AB5C: BF820000

000000000000ab60 <label_209B>:
	s_waitcnt vmcnt(0) expcnt(0) lgkmcnt(0)                    // 00000000AB60: BF8C0000
	s_endpgm                                                   // 00000000AB64: BF810000
